;; amdgpu-corpus repo=ROCm/rocFFT kind=compiled arch=gfx1100 opt=O3
	.text
	.amdgcn_target "amdgcn-amd-amdhsa--gfx1100"
	.amdhsa_code_object_version 6
	.protected	fft_rtc_fwd_len4050_factors_10_5_3_3_3_3_wgs_135_tpt_135_halfLds_half_op_CI_CI_unitstride_sbrr_R2C_dirReg ; -- Begin function fft_rtc_fwd_len4050_factors_10_5_3_3_3_3_wgs_135_tpt_135_halfLds_half_op_CI_CI_unitstride_sbrr_R2C_dirReg
	.globl	fft_rtc_fwd_len4050_factors_10_5_3_3_3_3_wgs_135_tpt_135_halfLds_half_op_CI_CI_unitstride_sbrr_R2C_dirReg
	.p2align	8
	.type	fft_rtc_fwd_len4050_factors_10_5_3_3_3_3_wgs_135_tpt_135_halfLds_half_op_CI_CI_unitstride_sbrr_R2C_dirReg,@function
fft_rtc_fwd_len4050_factors_10_5_3_3_3_3_wgs_135_tpt_135_halfLds_half_op_CI_CI_unitstride_sbrr_R2C_dirReg: ; @fft_rtc_fwd_len4050_factors_10_5_3_3_3_3_wgs_135_tpt_135_halfLds_half_op_CI_CI_unitstride_sbrr_R2C_dirReg
; %bb.0:
	s_clause 0x2
	s_load_b128 s[8:11], s[0:1], 0x0
	s_load_b128 s[4:7], s[0:1], 0x58
	;; [unrolled: 1-line block ×3, first 2 shown]
	v_mul_u32_u24_e32 v1, 0x1e6, v0
	v_mov_b32_e32 v3, 0
	s_delay_alu instid0(VALU_DEP_2) | instskip(NEXT) | instid1(VALU_DEP_1)
	v_lshrrev_b32_e32 v1, 16, v1
	v_add_nc_u32_e32 v5, s15, v1
	v_mov_b32_e32 v1, 0
	v_mov_b32_e32 v2, 0
	;; [unrolled: 1-line block ×3, first 2 shown]
	s_waitcnt lgkmcnt(0)
	v_cmp_lt_u64_e64 s2, s[10:11], 2
	s_delay_alu instid0(VALU_DEP_1)
	s_and_b32 vcc_lo, exec_lo, s2
	s_cbranch_vccnz .LBB0_8
; %bb.1:
	s_load_b64 s[2:3], s[0:1], 0x10
	v_mov_b32_e32 v1, 0
	v_mov_b32_e32 v2, 0
	s_add_u32 s12, s18, 8
	s_addc_u32 s13, s19, 0
	s_add_u32 s14, s16, 8
	s_addc_u32 s15, s17, 0
	v_dual_mov_b32 v15, v2 :: v_dual_mov_b32 v14, v1
	s_mov_b64 s[22:23], 1
	s_waitcnt lgkmcnt(0)
	s_add_u32 s20, s2, 8
	s_addc_u32 s21, s3, 0
.LBB0_2:                                ; =>This Inner Loop Header: Depth=1
	s_load_b64 s[24:25], s[20:21], 0x0
                                        ; implicit-def: $vgpr18_vgpr19
	s_mov_b32 s2, exec_lo
	s_waitcnt lgkmcnt(0)
	v_or_b32_e32 v4, s25, v6
	s_delay_alu instid0(VALU_DEP_1)
	v_cmpx_ne_u64_e32 0, v[3:4]
	s_xor_b32 s3, exec_lo, s2
	s_cbranch_execz .LBB0_4
; %bb.3:                                ;   in Loop: Header=BB0_2 Depth=1
	v_cvt_f32_u32_e32 v4, s24
	v_cvt_f32_u32_e32 v7, s25
	s_sub_u32 s2, 0, s24
	s_subb_u32 s26, 0, s25
	s_delay_alu instid0(VALU_DEP_1) | instskip(NEXT) | instid1(VALU_DEP_1)
	v_fmac_f32_e32 v4, 0x4f800000, v7
	v_rcp_f32_e32 v4, v4
	s_waitcnt_depctr 0xfff
	v_mul_f32_e32 v4, 0x5f7ffffc, v4
	s_delay_alu instid0(VALU_DEP_1) | instskip(NEXT) | instid1(VALU_DEP_1)
	v_mul_f32_e32 v7, 0x2f800000, v4
	v_trunc_f32_e32 v7, v7
	s_delay_alu instid0(VALU_DEP_1) | instskip(SKIP_1) | instid1(VALU_DEP_2)
	v_fmac_f32_e32 v4, 0xcf800000, v7
	v_cvt_u32_f32_e32 v7, v7
	v_cvt_u32_f32_e32 v4, v4
	s_delay_alu instid0(VALU_DEP_2) | instskip(NEXT) | instid1(VALU_DEP_2)
	v_mul_lo_u32 v8, s2, v7
	v_mul_hi_u32 v9, s2, v4
	v_mul_lo_u32 v10, s26, v4
	s_delay_alu instid0(VALU_DEP_2) | instskip(SKIP_1) | instid1(VALU_DEP_2)
	v_add_nc_u32_e32 v8, v9, v8
	v_mul_lo_u32 v9, s2, v4
	v_add_nc_u32_e32 v8, v8, v10
	s_delay_alu instid0(VALU_DEP_2) | instskip(NEXT) | instid1(VALU_DEP_2)
	v_mul_hi_u32 v10, v4, v9
	v_mul_lo_u32 v11, v4, v8
	v_mul_hi_u32 v12, v4, v8
	v_mul_hi_u32 v13, v7, v9
	v_mul_lo_u32 v9, v7, v9
	v_mul_hi_u32 v16, v7, v8
	v_mul_lo_u32 v8, v7, v8
	v_add_co_u32 v10, vcc_lo, v10, v11
	v_add_co_ci_u32_e32 v11, vcc_lo, 0, v12, vcc_lo
	s_delay_alu instid0(VALU_DEP_2) | instskip(NEXT) | instid1(VALU_DEP_2)
	v_add_co_u32 v9, vcc_lo, v10, v9
	v_add_co_ci_u32_e32 v9, vcc_lo, v11, v13, vcc_lo
	v_add_co_ci_u32_e32 v10, vcc_lo, 0, v16, vcc_lo
	s_delay_alu instid0(VALU_DEP_2) | instskip(NEXT) | instid1(VALU_DEP_2)
	v_add_co_u32 v8, vcc_lo, v9, v8
	v_add_co_ci_u32_e32 v9, vcc_lo, 0, v10, vcc_lo
	s_delay_alu instid0(VALU_DEP_2) | instskip(NEXT) | instid1(VALU_DEP_2)
	v_add_co_u32 v4, vcc_lo, v4, v8
	v_add_co_ci_u32_e32 v7, vcc_lo, v7, v9, vcc_lo
	s_delay_alu instid0(VALU_DEP_2) | instskip(SKIP_1) | instid1(VALU_DEP_3)
	v_mul_hi_u32 v8, s2, v4
	v_mul_lo_u32 v10, s26, v4
	v_mul_lo_u32 v9, s2, v7
	s_delay_alu instid0(VALU_DEP_1) | instskip(SKIP_1) | instid1(VALU_DEP_2)
	v_add_nc_u32_e32 v8, v8, v9
	v_mul_lo_u32 v9, s2, v4
	v_add_nc_u32_e32 v8, v8, v10
	s_delay_alu instid0(VALU_DEP_2) | instskip(NEXT) | instid1(VALU_DEP_2)
	v_mul_hi_u32 v10, v4, v9
	v_mul_lo_u32 v11, v4, v8
	v_mul_hi_u32 v12, v4, v8
	v_mul_hi_u32 v13, v7, v9
	v_mul_lo_u32 v9, v7, v9
	v_mul_hi_u32 v16, v7, v8
	v_mul_lo_u32 v8, v7, v8
	v_add_co_u32 v10, vcc_lo, v10, v11
	v_add_co_ci_u32_e32 v11, vcc_lo, 0, v12, vcc_lo
	s_delay_alu instid0(VALU_DEP_2) | instskip(NEXT) | instid1(VALU_DEP_2)
	v_add_co_u32 v9, vcc_lo, v10, v9
	v_add_co_ci_u32_e32 v9, vcc_lo, v11, v13, vcc_lo
	v_add_co_ci_u32_e32 v10, vcc_lo, 0, v16, vcc_lo
	s_delay_alu instid0(VALU_DEP_2) | instskip(NEXT) | instid1(VALU_DEP_2)
	v_add_co_u32 v8, vcc_lo, v9, v8
	v_add_co_ci_u32_e32 v9, vcc_lo, 0, v10, vcc_lo
	s_delay_alu instid0(VALU_DEP_2) | instskip(NEXT) | instid1(VALU_DEP_2)
	v_add_co_u32 v4, vcc_lo, v4, v8
	v_add_co_ci_u32_e32 v13, vcc_lo, v7, v9, vcc_lo
	s_delay_alu instid0(VALU_DEP_2) | instskip(SKIP_1) | instid1(VALU_DEP_3)
	v_mul_hi_u32 v16, v5, v4
	v_mad_u64_u32 v[9:10], null, v6, v4, 0
	v_mad_u64_u32 v[7:8], null, v5, v13, 0
	;; [unrolled: 1-line block ×3, first 2 shown]
	s_delay_alu instid0(VALU_DEP_2) | instskip(NEXT) | instid1(VALU_DEP_3)
	v_add_co_u32 v4, vcc_lo, v16, v7
	v_add_co_ci_u32_e32 v7, vcc_lo, 0, v8, vcc_lo
	s_delay_alu instid0(VALU_DEP_2) | instskip(NEXT) | instid1(VALU_DEP_2)
	v_add_co_u32 v4, vcc_lo, v4, v9
	v_add_co_ci_u32_e32 v4, vcc_lo, v7, v10, vcc_lo
	v_add_co_ci_u32_e32 v7, vcc_lo, 0, v12, vcc_lo
	s_delay_alu instid0(VALU_DEP_2) | instskip(NEXT) | instid1(VALU_DEP_2)
	v_add_co_u32 v4, vcc_lo, v4, v11
	v_add_co_ci_u32_e32 v9, vcc_lo, 0, v7, vcc_lo
	s_delay_alu instid0(VALU_DEP_2) | instskip(SKIP_1) | instid1(VALU_DEP_3)
	v_mul_lo_u32 v10, s25, v4
	v_mad_u64_u32 v[7:8], null, s24, v4, 0
	v_mul_lo_u32 v11, s24, v9
	s_delay_alu instid0(VALU_DEP_2) | instskip(NEXT) | instid1(VALU_DEP_2)
	v_sub_co_u32 v7, vcc_lo, v5, v7
	v_add3_u32 v8, v8, v11, v10
	s_delay_alu instid0(VALU_DEP_1) | instskip(NEXT) | instid1(VALU_DEP_1)
	v_sub_nc_u32_e32 v10, v6, v8
	v_subrev_co_ci_u32_e64 v10, s2, s25, v10, vcc_lo
	v_add_co_u32 v11, s2, v4, 2
	s_delay_alu instid0(VALU_DEP_1) | instskip(SKIP_3) | instid1(VALU_DEP_3)
	v_add_co_ci_u32_e64 v12, s2, 0, v9, s2
	v_sub_co_u32 v13, s2, v7, s24
	v_sub_co_ci_u32_e32 v8, vcc_lo, v6, v8, vcc_lo
	v_subrev_co_ci_u32_e64 v10, s2, 0, v10, s2
	v_cmp_le_u32_e32 vcc_lo, s24, v13
	s_delay_alu instid0(VALU_DEP_3) | instskip(SKIP_1) | instid1(VALU_DEP_4)
	v_cmp_eq_u32_e64 s2, s25, v8
	v_cndmask_b32_e64 v13, 0, -1, vcc_lo
	v_cmp_le_u32_e32 vcc_lo, s25, v10
	v_cndmask_b32_e64 v16, 0, -1, vcc_lo
	v_cmp_le_u32_e32 vcc_lo, s24, v7
	;; [unrolled: 2-line block ×3, first 2 shown]
	v_cndmask_b32_e64 v17, 0, -1, vcc_lo
	v_cmp_eq_u32_e32 vcc_lo, s25, v10
	s_delay_alu instid0(VALU_DEP_2) | instskip(SKIP_3) | instid1(VALU_DEP_3)
	v_cndmask_b32_e64 v7, v17, v7, s2
	v_cndmask_b32_e32 v10, v16, v13, vcc_lo
	v_add_co_u32 v13, vcc_lo, v4, 1
	v_add_co_ci_u32_e32 v16, vcc_lo, 0, v9, vcc_lo
	v_cmp_ne_u32_e32 vcc_lo, 0, v10
	s_delay_alu instid0(VALU_DEP_2) | instskip(NEXT) | instid1(VALU_DEP_4)
	v_cndmask_b32_e32 v8, v16, v12, vcc_lo
	v_cndmask_b32_e32 v10, v13, v11, vcc_lo
	v_cmp_ne_u32_e32 vcc_lo, 0, v7
	s_delay_alu instid0(VALU_DEP_2)
	v_dual_cndmask_b32 v19, v9, v8 :: v_dual_cndmask_b32 v18, v4, v10
.LBB0_4:                                ;   in Loop: Header=BB0_2 Depth=1
	s_and_not1_saveexec_b32 s2, s3
	s_cbranch_execz .LBB0_6
; %bb.5:                                ;   in Loop: Header=BB0_2 Depth=1
	v_cvt_f32_u32_e32 v4, s24
	s_sub_i32 s3, 0, s24
	v_mov_b32_e32 v19, v3
	s_delay_alu instid0(VALU_DEP_2) | instskip(SKIP_2) | instid1(VALU_DEP_1)
	v_rcp_iflag_f32_e32 v4, v4
	s_waitcnt_depctr 0xfff
	v_mul_f32_e32 v4, 0x4f7ffffe, v4
	v_cvt_u32_f32_e32 v4, v4
	s_delay_alu instid0(VALU_DEP_1) | instskip(NEXT) | instid1(VALU_DEP_1)
	v_mul_lo_u32 v7, s3, v4
	v_mul_hi_u32 v7, v4, v7
	s_delay_alu instid0(VALU_DEP_1) | instskip(NEXT) | instid1(VALU_DEP_1)
	v_add_nc_u32_e32 v4, v4, v7
	v_mul_hi_u32 v4, v5, v4
	s_delay_alu instid0(VALU_DEP_1) | instskip(SKIP_1) | instid1(VALU_DEP_2)
	v_mul_lo_u32 v7, v4, s24
	v_add_nc_u32_e32 v8, 1, v4
	v_sub_nc_u32_e32 v7, v5, v7
	s_delay_alu instid0(VALU_DEP_1) | instskip(SKIP_1) | instid1(VALU_DEP_2)
	v_subrev_nc_u32_e32 v9, s24, v7
	v_cmp_le_u32_e32 vcc_lo, s24, v7
	v_dual_cndmask_b32 v7, v7, v9 :: v_dual_cndmask_b32 v4, v4, v8
	s_delay_alu instid0(VALU_DEP_1) | instskip(NEXT) | instid1(VALU_DEP_2)
	v_cmp_le_u32_e32 vcc_lo, s24, v7
	v_add_nc_u32_e32 v8, 1, v4
	s_delay_alu instid0(VALU_DEP_1)
	v_cndmask_b32_e32 v18, v4, v8, vcc_lo
.LBB0_6:                                ;   in Loop: Header=BB0_2 Depth=1
	s_or_b32 exec_lo, exec_lo, s2
	s_delay_alu instid0(VALU_DEP_1) | instskip(NEXT) | instid1(VALU_DEP_2)
	v_mul_lo_u32 v4, v19, s24
	v_mul_lo_u32 v9, v18, s25
	s_load_b64 s[2:3], s[14:15], 0x0
	v_mad_u64_u32 v[7:8], null, v18, s24, 0
	s_load_b64 s[24:25], s[12:13], 0x0
	s_add_u32 s22, s22, 1
	s_addc_u32 s23, s23, 0
	s_add_u32 s12, s12, 8
	s_addc_u32 s13, s13, 0
	s_add_u32 s14, s14, 8
	s_delay_alu instid0(VALU_DEP_1) | instskip(SKIP_3) | instid1(VALU_DEP_2)
	v_add3_u32 v4, v8, v9, v4
	v_sub_co_u32 v8, vcc_lo, v5, v7
	s_addc_u32 s15, s15, 0
	s_add_u32 s20, s20, 8
	v_sub_co_ci_u32_e32 v6, vcc_lo, v6, v4, vcc_lo
	s_addc_u32 s21, s21, 0
	s_waitcnt lgkmcnt(0)
	s_delay_alu instid0(VALU_DEP_1)
	v_mul_lo_u32 v9, s2, v6
	v_mul_lo_u32 v10, s3, v8
	v_mad_u64_u32 v[4:5], null, s2, v8, v[1:2]
	v_mul_lo_u32 v11, s24, v6
	v_mul_lo_u32 v12, s25, v8
	v_mad_u64_u32 v[6:7], null, s24, v8, v[14:15]
	v_cmp_ge_u64_e64 s2, s[22:23], s[10:11]
	v_add3_u32 v2, v10, v5, v9
	s_delay_alu instid0(VALU_DEP_3) | instskip(NEXT) | instid1(VALU_DEP_4)
	v_dual_mov_b32 v1, v4 :: v_dual_mov_b32 v14, v6
	v_add3_u32 v15, v12, v7, v11
	s_delay_alu instid0(VALU_DEP_4)
	s_and_b32 vcc_lo, exec_lo, s2
	s_cbranch_vccnz .LBB0_9
; %bb.7:                                ;   in Loop: Header=BB0_2 Depth=1
	v_dual_mov_b32 v5, v18 :: v_dual_mov_b32 v6, v19
	s_branch .LBB0_2
.LBB0_8:
	v_dual_mov_b32 v15, v2 :: v_dual_mov_b32 v14, v1
	v_dual_mov_b32 v19, v6 :: v_dual_mov_b32 v18, v5
.LBB0_9:
	s_load_b64 s[0:1], s[0:1], 0x28
	v_mul_hi_u32 v3, 0x1e573ad, v0
	s_lshl_b64 s[10:11], s[10:11], 3
                                        ; implicit-def: $vgpr12
                                        ; implicit-def: $vgpr16
                                        ; implicit-def: $vgpr27
                                        ; implicit-def: $vgpr23
                                        ; implicit-def: $vgpr26
                                        ; implicit-def: $vgpr25
                                        ; implicit-def: $vgpr24
                                        ; implicit-def: $vgpr22
                                        ; implicit-def: $vgpr21
                                        ; implicit-def: $vgpr20
	s_delay_alu instid0(SALU_CYCLE_1) | instskip(SKIP_4) | instid1(VALU_DEP_1)
	s_add_u32 s2, s18, s10
	s_addc_u32 s3, s19, s11
	s_waitcnt lgkmcnt(0)
	v_cmp_gt_u64_e32 vcc_lo, s[0:1], v[18:19]
	v_cmp_le_u64_e64 s0, s[0:1], v[18:19]
	s_and_saveexec_b32 s1, s0
	s_delay_alu instid0(SALU_CYCLE_1)
	s_xor_b32 s0, exec_lo, s1
; %bb.10:
	v_mul_u32_u24_e32 v1, 0x87, v3
                                        ; implicit-def: $vgpr3
	s_delay_alu instid0(VALU_DEP_1) | instskip(NEXT) | instid1(VALU_DEP_1)
	v_sub_nc_u32_e32 v12, v0, v1
                                        ; implicit-def: $vgpr0
                                        ; implicit-def: $vgpr1_vgpr2
	v_add_nc_u32_e32 v16, 0x87, v12
	v_add_nc_u32_e32 v27, 0x10e, v12
	;; [unrolled: 1-line block ×9, first 2 shown]
; %bb.11:
	s_and_not1_saveexec_b32 s1, s0
	s_cbranch_execz .LBB0_13
; %bb.12:
	s_add_u32 s10, s16, s10
	s_addc_u32 s11, s17, s11
	v_lshlrev_b64 v[1:2], 2, v[1:2]
	s_load_b64 s[10:11], s[10:11], 0x0
	s_waitcnt lgkmcnt(0)
	v_mul_lo_u32 v6, s11, v18
	v_mul_lo_u32 v7, s10, v19
	v_mad_u64_u32 v[4:5], null, s10, v18, 0
	s_delay_alu instid0(VALU_DEP_1) | instskip(SKIP_1) | instid1(VALU_DEP_2)
	v_add3_u32 v5, v5, v7, v6
	v_mul_u32_u24_e32 v6, 0x87, v3
	v_lshlrev_b64 v[3:4], 2, v[4:5]
	s_delay_alu instid0(VALU_DEP_2) | instskip(NEXT) | instid1(VALU_DEP_1)
	v_sub_nc_u32_e32 v12, v0, v6
	v_lshlrev_b32_e32 v6, 2, v12
	s_delay_alu instid0(VALU_DEP_3) | instskip(NEXT) | instid1(VALU_DEP_1)
	v_add_co_u32 v0, s0, s4, v3
	v_add_co_ci_u32_e64 v3, s0, s5, v4, s0
	v_add_nc_u32_e32 v16, 0x87, v12
	s_delay_alu instid0(VALU_DEP_3) | instskip(NEXT) | instid1(VALU_DEP_1)
	v_add_co_u32 v0, s0, v0, v1
	v_add_co_ci_u32_e64 v1, s0, v3, v2, s0
	v_add_nc_u32_e32 v27, 0x10e, v12
	s_delay_alu instid0(VALU_DEP_3) | instskip(NEXT) | instid1(VALU_DEP_1)
	v_add_co_u32 v0, s0, v0, v6
	v_add_co_ci_u32_e64 v1, s0, 0, v1, s0
	s_clause 0x7
	global_load_b32 v7, v[0:1], off
	global_load_b32 v8, v[0:1], off offset:540
	global_load_b32 v9, v[0:1], off offset:1080
	;; [unrolled: 1-line block ×7, first 2 shown]
	v_add_co_u32 v2, s0, 0x1000, v0
	s_delay_alu instid0(VALU_DEP_1) | instskip(SKIP_1) | instid1(VALU_DEP_1)
	v_add_co_ci_u32_e64 v3, s0, 0, v1, s0
	v_add_co_u32 v4, s0, 0x2000, v0
	v_add_co_ci_u32_e64 v5, s0, 0, v1, s0
	v_add_co_u32 v0, s0, 0x3000, v0
	s_delay_alu instid0(VALU_DEP_1)
	v_add_co_ci_u32_e64 v1, s0, 0, v1, s0
	s_clause 0x15
	global_load_b32 v29, v[2:3], off offset:224
	global_load_b32 v30, v[2:3], off offset:764
	;; [unrolled: 1-line block ×22, first 2 shown]
	v_add_nc_u32_e32 v1, 0, v6
	v_add_nc_u32_e32 v26, 0x195, v12
	;; [unrolled: 1-line block ×22, first 2 shown]
	s_waitcnt vmcnt(28)
	ds_store_2addr_b32 v1, v7, v8 offset1:135
	s_waitcnt vmcnt(26)
	ds_store_2addr_b32 v6, v9, v10 offset0:14 offset1:149
	s_waitcnt vmcnt(24)
	ds_store_2addr_b32 v46, v11, v13 offset0:28 offset1:163
	s_waitcnt vmcnt(22)
	ds_store_2addr_b32 v47, v17, v28 offset0:42 offset1:177
	s_waitcnt vmcnt(20)
	ds_store_2addr_b32 v48, v29, v30 offset0:56 offset1:191
	s_waitcnt vmcnt(18)
	ds_store_2addr_b32 v49, v31, v32 offset0:70 offset1:205
	s_waitcnt vmcnt(16)
	ds_store_2addr_b32 v50, v33, v34 offset0:84 offset1:219
	s_waitcnt vmcnt(14)
	ds_store_2addr_b32 v51, v35, v2 offset0:98 offset1:233
	s_waitcnt vmcnt(12)
	ds_store_2addr_b32 v52, v3, v36 offset0:112 offset1:247
	s_waitcnt vmcnt(10)
	ds_store_2addr_b32 v53, v37, v38 offset0:62 offset1:197
	s_waitcnt vmcnt(8)
	ds_store_2addr_b32 v54, v39, v40 offset0:12 offset1:147
	s_waitcnt vmcnt(6)
	ds_store_2addr_b32 v55, v4, v5 offset0:26 offset1:161
	s_waitcnt vmcnt(4)
	ds_store_2addr_b32 v56, v41, v42 offset0:40 offset1:175
	s_waitcnt vmcnt(2)
	ds_store_2addr_b32 v57, v43, v44 offset0:54 offset1:189
	s_waitcnt vmcnt(0)
	ds_store_2addr_b32 v58, v45, v0 offset0:68 offset1:203
.LBB0_13:
	s_or_b32 exec_lo, exec_lo, s1
	v_lshlrev_b32_e32 v13, 2, v12
	s_load_b64 s[2:3], s[2:3], 0x0
	s_waitcnt lgkmcnt(0)
	s_barrier
	buffer_gl0_inv
	v_add_nc_u32_e32 v46, 0, v13
	v_cmp_gt_u32_e64 s0, 15, v12
	s_add_u32 s1, s8, 0x3f20
	s_addc_u32 s4, s9, 0
	s_mov_b32 s5, exec_lo
	v_add_nc_u32_e32 v49, 0x1c00, v46
	v_add_nc_u32_e32 v50, 0x2a00, v46
	;; [unrolled: 1-line block ×5, first 2 shown]
	ds_load_2addr_b32 v[6:7], v49 offset0:98 offset1:233
	ds_load_2addr_b32 v[8:9], v50 offset0:12 offset1:147
	;; [unrolled: 1-line block ×4, first 2 shown]
	v_add_nc_u32_e32 v10, 0x800, v46
	v_add_nc_u32_e32 v51, 0x1400, v46
	;; [unrolled: 1-line block ×3, first 2 shown]
	ds_load_2addr_b32 v[4:5], v4 offset0:14 offset1:149
	v_add_nc_u32_e32 v52, 0x2e00, v46
	v_add_nc_u32_e32 v17, 0x3a00, v46
	ds_load_2addr_b32 v[40:41], v10 offset0:28 offset1:163
	ds_load_2addr_b32 v[38:39], v51 offset0:70 offset1:205
	;; [unrolled: 1-line block ×5, first 2 shown]
	v_add_nc_u32_e32 v55, 0x1800, v46
	s_waitcnt lgkmcnt(9)
	v_lshrrev_b32_e32 v31, 16, v6
	s_waitcnt lgkmcnt(8)
	v_add_f16_e32 v28, v6, v8
	s_waitcnt lgkmcnt(7)
	v_lshrrev_b32_e32 v29, 16, v2
	s_waitcnt lgkmcnt(6)
	v_lshrrev_b32_e32 v30, 16, v0
	v_lshrrev_b32_e32 v32, 16, v8
	v_sub_f16_e32 v33, v0, v8
	v_sub_f16_e32 v34, v2, v6
	s_waitcnt lgkmcnt(5)
	v_fma_f16 v61, -0.5, v28, v4
	v_sub_f16_e32 v28, v29, v30
	v_sub_f16_e32 v54, v31, v32
	v_add_f16_e32 v35, v2, v0
	v_add_f16_e32 v33, v34, v33
	v_lshrrev_b32_e32 v70, 16, v4
	v_fmamk_f16 v58, v28, 0x3b9c, v61
	v_fmac_f16_e32 v61, 0xbb9c, v28
	v_add_f16_e32 v34, v31, v32
	v_fma_f16 v59, -0.5, v35, v4
	v_sub_f16_e32 v36, v8, v0
	v_fmac_f16_e32 v58, 0x38b4, v54
	v_fmac_f16_e32 v61, 0xb8b4, v54
	v_sub_f16_e32 v37, v6, v2
	v_sub_f16_e32 v53, v2, v0
	v_fma_f16 v72, -0.5, v34, v70
	v_fmac_f16_e32 v58, 0x34f2, v33
	v_fmac_f16_e32 v61, 0x34f2, v33
	v_add_f16_e32 v33, v29, v30
	v_fmamk_f16 v62, v54, 0xbb9c, v59
	v_fmac_f16_e32 v59, 0x3b9c, v54
	v_sub_f16_e32 v34, v6, v8
	v_add_f16_e32 v35, v37, v36
	v_fmac_f16_e32 v70, -0.5, v33
	v_fmamk_f16 v71, v53, 0xbb9c, v72
	v_sub_f16_e32 v36, v29, v31
	v_sub_f16_e32 v37, v30, v32
	v_fmac_f16_e32 v72, 0x3b9c, v53
	v_fmac_f16_e32 v62, 0x38b4, v28
	;; [unrolled: 1-line block ×3, first 2 shown]
	v_fmamk_f16 v73, v34, 0x3b9c, v70
	v_sub_f16_e32 v29, v31, v29
	v_sub_f16_e32 v30, v32, v30
	v_fmac_f16_e32 v70, 0xbb9c, v34
	v_fmac_f16_e32 v71, 0xb8b4, v34
	v_add_f16_e32 v28, v36, v37
	v_fmac_f16_e32 v72, 0x38b4, v34
	v_fmac_f16_e32 v62, 0x34f2, v35
	;; [unrolled: 1-line block ×4, first 2 shown]
	s_waitcnt lgkmcnt(3)
	v_lshrrev_b32_e32 v33, 16, v39
	s_waitcnt lgkmcnt(0)
	v_lshrrev_b32_e32 v35, 16, v11
	v_lshrrev_b32_e32 v31, 16, v43
	;; [unrolled: 1-line block ×3, first 2 shown]
	v_add_f16_e32 v29, v29, v30
	v_fmac_f16_e32 v70, 0x38b4, v53
	v_add_f16_e32 v30, v39, v11
	v_sub_f16_e32 v36, v11, v45
	v_sub_f16_e32 v37, v39, v43
	v_fmac_f16_e32 v71, 0x34f2, v28
	v_fmac_f16_e32 v72, 0x34f2, v28
	v_add_f16_e32 v28, v43, v45
	v_sub_f16_e32 v34, v31, v32
	v_fmac_f16_e32 v73, 0x34f2, v29
	v_fma_f16 v65, -0.5, v30, v41
	v_fmac_f16_e32 v70, 0x34f2, v29
	v_add_f16_e32 v29, v37, v36
	v_add_f16_e32 v30, v31, v32
	v_lshrrev_b32_e32 v67, 16, v41
	v_add_f16_e32 v36, v33, v35
	v_fma_f16 v63, -0.5, v28, v41
	v_sub_f16_e32 v28, v33, v35
	v_fmamk_f16 v66, v34, 0xbb9c, v65
	v_fma_f16 v68, -0.5, v30, v67
	v_sub_f16_e32 v30, v39, v11
	v_sub_f16_e32 v37, v43, v45
	v_fmac_f16_e32 v67, -0.5, v36
	v_sub_f16_e32 v36, v45, v11
	v_sub_f16_e32 v53, v43, v39
	v_fmac_f16_e32 v65, 0x3b9c, v34
	v_fmamk_f16 v64, v28, 0x3b9c, v63
	v_fmac_f16_e32 v63, 0xbb9c, v28
	v_fmamk_f16 v69, v30, 0xbb9c, v68
	v_sub_f16_e32 v54, v33, v31
	v_fmamk_f16 v74, v37, 0x3b9c, v67
	v_sub_f16_e32 v31, v31, v33
	v_sub_f16_e32 v33, v32, v35
	;; [unrolled: 1-line block ×3, first 2 shown]
	v_add_f16_e32 v35, v53, v36
	v_fmac_f16_e32 v68, 0x3b9c, v30
	v_fmac_f16_e32 v67, 0xbb9c, v37
	;; [unrolled: 1-line block ×8, first 2 shown]
	v_add_f16_e32 v31, v31, v33
	v_add_f16_e32 v32, v54, v32
	v_fmac_f16_e32 v68, 0x38b4, v37
	v_fmac_f16_e32 v67, 0x38b4, v30
	;; [unrolled: 1-line block ×3, first 2 shown]
	v_add_nc_u32_e32 v53, 0x2500, v46
	v_fmac_f16_e32 v64, 0x34f2, v29
	v_fmac_f16_e32 v63, 0x34f2, v29
	v_add_nc_u32_e32 v29, 0xc00, v46
	v_add_nc_u32_e32 v54, 0x3200, v46
	v_fmac_f16_e32 v66, 0x34f2, v35
	v_fmac_f16_e32 v74, 0x34f2, v31
	;; [unrolled: 1-line block ×5, first 2 shown]
	v_mul_f16_e32 v28, 0x34f2, v65
	ds_load_2addr_b32 v[30:31], v55 offset0:84 offset1:219
	ds_load_2addr_b32 v[32:33], v53 offset0:62 offset1:197
	;; [unrolled: 1-line block ×4, first 2 shown]
	v_mul_f16_e32 v75, 0x3a79, v64
	v_mul_f16_e32 v76, 0x3b9c, v74
	;; [unrolled: 1-line block ×3, first 2 shown]
	v_fma_f16 v77, v67, 0x3b9c, -v28
	ds_load_2addr_b32 v[28:29], v46 offset1:135
	v_mul_f16_e32 v80, 0xbb9c, v66
	v_mul_f16_e32 v64, 0x34f2, v67
	v_fmac_f16_e32 v75, 0x38b4, v69
	v_fmac_f16_e32 v76, 0x34f2, v66
	v_mul_f16_e32 v78, 0x3a79, v63
	v_fmac_f16_e32 v80, 0x34f2, v74
	v_fma_f16 v74, v65, 0xbb9c, -v64
	v_add_f16_e32 v57, v58, v75
	v_add_f16_e32 v56, v62, v76
	;; [unrolled: 1-line block ×3, first 2 shown]
	v_mul_f16_e32 v66, 0x3a79, v68
	v_fma_f16 v78, v68, 0x38b4, -v78
	s_waitcnt lgkmcnt(3)
	v_add_f16_e32 v64, v31, v33
	s_waitcnt lgkmcnt(2)
	v_lshrrev_b32_e32 v82, 16, v35
	s_waitcnt lgkmcnt(1)
	v_lshrrev_b32_e32 v83, 16, v37
	v_fmac_f16_e32 v79, 0x3a79, v69
	v_sub_f16_e32 v69, v58, v75
	v_sub_f16_e32 v58, v62, v76
	;; [unrolled: 1-line block ×3, first 2 shown]
	s_waitcnt lgkmcnt(0)
	v_fma_f16 v64, -0.5, v64, v29
	v_sub_f16_e32 v75, v82, v83
	v_lshrrev_b32_e32 v76, 16, v31
	v_lshrrev_b32_e32 v77, 16, v33
	v_fma_f16 v81, v63, 0xb8b4, -v66
	v_add_f16_e32 v63, v61, v78
	v_add_f16_e32 v67, v71, v79
	;; [unrolled: 1-line block ×3, first 2 shown]
	v_sub_f16_e32 v61, v61, v78
	v_sub_f16_e32 v71, v71, v79
	;; [unrolled: 1-line block ×3, first 2 shown]
	v_fmamk_f16 v78, v75, 0x3b9c, v64
	v_sub_f16_e32 v79, v76, v77
	v_sub_f16_e32 v73, v37, v33
	;; [unrolled: 1-line block ×3, first 2 shown]
	v_fmac_f16_e32 v64, 0xbb9c, v75
	v_add_f16_e32 v84, v35, v37
	v_add_f16_e32 v68, v70, v74
	v_sub_f16_e32 v70, v70, v74
	v_fmac_f16_e32 v78, 0x38b4, v79
	v_add_f16_e32 v74, v80, v73
	v_fmac_f16_e32 v64, 0xb8b4, v79
	v_fma_f16 v73, -0.5, v84, v29
	v_add_f16_e32 v66, v72, v81
	v_sub_f16_e32 v80, v33, v37
	v_sub_f16_e32 v84, v31, v35
	;; [unrolled: 1-line block ×3, first 2 shown]
	v_fmac_f16_e32 v78, 0x34f2, v74
	v_fmac_f16_e32 v64, 0x34f2, v74
	v_fmamk_f16 v74, v79, 0xbb9c, v73
	v_fmac_f16_e32 v73, 0x3b9c, v79
	v_add_f16_e32 v79, v76, v77
	v_lshrrev_b32_e32 v81, 16, v29
	v_add_f16_e32 v80, v84, v80
	v_sub_f16_e32 v84, v82, v76
	v_sub_f16_e32 v85, v83, v77
	v_sub_f16_e32 v87, v35, v37
	v_fma_f16 v79, -0.5, v79, v81
	v_fmac_f16_e32 v74, 0x38b4, v75
	v_add_f16_e32 v86, v82, v83
	v_fmac_f16_e32 v73, 0xb8b4, v75
	v_add_f16_e32 v75, v84, v85
	v_pk_add_f16 v39, v41, v39
	v_fmamk_f16 v84, v87, 0xbb9c, v79
	v_sub_f16_e32 v41, v31, v33
	v_fmac_f16_e32 v79, 0x3b9c, v87
	v_fmac_f16_e32 v81, -0.5, v86
	v_pk_add_f16 v39, v39, v43
	v_sub_f16_e32 v43, v76, v82
	v_sub_f16_e32 v76, v77, v83
	v_fmac_f16_e32 v84, 0xb8b4, v41
	v_fmac_f16_e32 v79, 0x38b4, v41
	;; [unrolled: 1-line block ×4, first 2 shown]
	v_fmamk_f16 v77, v41, 0x3b9c, v81
	v_fmac_f16_e32 v84, 0x34f2, v75
	v_fmac_f16_e32 v79, 0x34f2, v75
	v_add_f16_e32 v43, v43, v76
	v_fmac_f16_e32 v81, 0xbb9c, v41
	v_sub_f16_e32 v41, v10, v44
	v_sub_f16_e32 v75, v38, v42
	v_add_f16_e32 v76, v42, v44
	v_lshrrev_b32_e32 v80, 16, v38
	v_lshrrev_b32_e32 v82, 16, v10
	v_pk_add_f16 v39, v39, v45
	v_pk_add_f16 v45, v40, v38
	v_add_f16_e32 v41, v75, v41
	v_lshrrev_b32_e32 v75, 16, v44
	v_lshrrev_b32_e32 v85, 16, v42
	v_fma_f16 v76, -0.5, v76, v40
	v_sub_f16_e32 v86, v80, v82
	v_pk_add_f16 v45, v45, v42
	v_add_f16_e32 v83, v38, v10
	v_sub_f16_e32 v88, v85, v75
	v_fmac_f16_e32 v77, 0xb8b4, v87
	v_fmamk_f16 v89, v86, 0x3b9c, v76
	v_fmac_f16_e32 v76, 0xbb9c, v86
	v_fmac_f16_e32 v81, 0x38b4, v87
	v_pk_add_f16 v45, v45, v44
	v_sub_f16_e32 v87, v44, v10
	v_fma_f16 v83, -0.5, v83, v40
	v_sub_f16_e32 v44, v42, v44
	v_sub_f16_e32 v42, v42, v38
	v_fmac_f16_e32 v89, 0x38b4, v88
	v_fmac_f16_e32 v76, 0xb8b4, v88
	v_fmamk_f16 v90, v88, 0xbb9c, v83
	v_fmac_f16_e32 v83, 0x3b9c, v88
	v_add_f16_e32 v42, v42, v87
	v_fmac_f16_e32 v89, 0x34f2, v41
	v_fmac_f16_e32 v76, 0x34f2, v41
	v_lshrrev_b32_e32 v40, 16, v40
	v_add_f16_e32 v41, v85, v75
	v_add_f16_e32 v87, v80, v82
	v_fmac_f16_e32 v90, 0x38b4, v86
	v_fmac_f16_e32 v83, 0xb8b4, v86
	;; [unrolled: 1-line block ×4, first 2 shown]
	v_sub_f16_e32 v43, v80, v85
	v_sub_f16_e32 v86, v82, v75
	v_fma_f16 v41, -0.5, v41, v40
	v_fmac_f16_e32 v40, -0.5, v87
	v_fmac_f16_e32 v90, 0x34f2, v42
	v_sub_f16_e32 v38, v38, v10
	v_fmac_f16_e32 v83, 0x34f2, v42
	v_add_f16_e32 v42, v43, v86
	v_sub_f16_e32 v43, v85, v80
	v_pk_add_f16 v29, v29, v35
	v_sub_f16_e32 v35, v75, v82
	v_fmamk_f16 v82, v44, 0x3b9c, v40
	v_fmamk_f16 v80, v38, 0xbb9c, v41
	v_fmac_f16_e32 v41, 0x3b9c, v38
	v_pk_add_f16 v29, v29, v31
	v_add_f16_e32 v31, v43, v35
	v_fmac_f16_e32 v82, 0xb8b4, v38
	v_fmac_f16_e32 v40, 0xbb9c, v44
	;; [unrolled: 1-line block ×4, first 2 shown]
	v_pk_add_f16 v29, v29, v33
	v_fmac_f16_e32 v82, 0x34f2, v31
	v_fmac_f16_e32 v40, 0x38b4, v38
	;; [unrolled: 1-line block ×3, first 2 shown]
	v_mul_f16_e32 v38, 0x3a79, v89
	v_pk_add_f16 v29, v29, v37
	v_pk_add_f16 v10, v45, v10
	v_mul_f16_e32 v37, 0x3b9c, v82
	v_fmac_f16_e32 v41, 0x34f2, v42
	v_fmac_f16_e32 v40, 0x34f2, v31
	v_mul_f16_e32 v45, 0xb8b4, v89
	v_mul_f16_e32 v33, 0x34f2, v83
	v_pk_add_f16 v11, v39, v11
	v_fmac_f16_e32 v38, 0x38b4, v80
	v_fmac_f16_e32 v37, 0x34f2, v90
	v_mul_f16_e32 v35, 0x3a79, v76
	v_fmac_f16_e32 v45, 0x3a79, v80
	v_mul_f16_e32 v80, 0xbb9c, v90
	v_fma_f16 v42, v40, 0x3b9c, -v33
	v_mul_f16_e32 v39, 0x34f2, v40
	v_mul_f16_e32 v40, 0x3a79, v41
	v_add_f16_e32 v31, v74, v37
	v_fma_f16 v44, v41, 0x38b4, -v35
	v_fmac_f16_e32 v80, 0x34f2, v82
	v_fma_f16 v82, v83, 0xbb9c, -v39
	v_fma_f16 v83, v76, 0xb8b4, -v40
	v_sub_f16_e32 v39, v74, v37
	v_pk_add_f16 v37, v28, v34
	v_add_f16_e32 v33, v73, v42
	v_add_f16_e32 v35, v64, v44
	;; [unrolled: 1-line block ×3, first 2 shown]
	v_sub_f16_e32 v41, v73, v42
	v_sub_f16_e32 v42, v64, v44
	v_add_f16_e32 v44, v79, v83
	v_pk_add_f16 v37, v37, v30
	v_sub_f16_e32 v64, v77, v80
	v_sub_f16_e32 v74, v79, v83
	v_lshrrev_b32_e32 v77, 16, v36
	v_add_f16_e32 v79, v30, v32
	v_lshrrev_b32_e32 v80, 16, v34
	v_add_f16_e32 v76, v84, v45
	v_sub_f16_e32 v45, v84, v45
	v_pk_add_f16 v37, v37, v32
	v_lshrrev_b32_e32 v83, 16, v30
	v_fma_f16 v79, -0.5, v79, v28
	v_sub_f16_e32 v84, v80, v77
	v_lshrrev_b32_e32 v85, 16, v32
	v_add_f16_e32 v75, v78, v38
	v_sub_f16_e32 v38, v78, v38
	v_sub_f16_e32 v78, v36, v32
	v_pk_add_f16 v86, v37, v36
	v_sub_f16_e32 v37, v34, v30
	v_fmamk_f16 v87, v84, 0x3b9c, v79
	v_sub_f16_e32 v88, v83, v85
	v_fmac_f16_e32 v79, 0xbb9c, v84
	v_add_f16_e32 v43, v81, v82
	v_sub_f16_e32 v73, v81, v82
	v_add_f16_e32 v81, v34, v36
	v_add_f16_e32 v37, v37, v78
	v_fmac_f16_e32 v87, 0x38b4, v88
	v_fmac_f16_e32 v79, 0xb8b4, v88
	v_sub_f16_e32 v82, v32, v36
	v_sub_f16_e32 v36, v34, v36
	;; [unrolled: 1-line block ×3, first 2 shown]
	v_fma_f16 v81, -0.5, v81, v28
	v_fmac_f16_e32 v87, 0x34f2, v37
	v_fmac_f16_e32 v79, 0x34f2, v37
	v_lshrrev_b32_e32 v28, 16, v28
	v_add_f16_e32 v37, v83, v85
	v_add_f16_e32 v34, v34, v82
	v_sub_f16_e32 v78, v80, v83
	v_sub_f16_e32 v82, v77, v85
	;; [unrolled: 1-line block ×3, first 2 shown]
	v_fma_f16 v89, -0.5, v37, v28
	v_fmamk_f16 v32, v88, 0xbb9c, v81
	v_fmac_f16_e32 v81, 0x3b9c, v88
	v_add_f16_e32 v88, v80, v77
	v_pk_add_f16 v2, v4, v2
	v_add_f16_e32 v4, v78, v82
	v_fmamk_f16 v78, v36, 0xbb9c, v89
	v_fmac_f16_e32 v89, 0x3b9c, v36
	v_fmac_f16_e32 v32, 0x38b4, v84
	;; [unrolled: 1-line block ×3, first 2 shown]
	v_fmac_f16_e32 v28, -0.5, v88
	v_fmac_f16_e32 v78, 0xb8b4, v30
	v_fmac_f16_e32 v89, 0x38b4, v30
	v_pk_add_f16 v2, v2, v6
	v_sub_f16_e32 v6, v83, v80
	v_sub_f16_e32 v37, v85, v77
	v_fmac_f16_e32 v32, 0x34f2, v34
	v_fmac_f16_e32 v81, 0x34f2, v34
	;; [unrolled: 1-line block ×4, first 2 shown]
	v_fmamk_f16 v4, v30, 0x3b9c, v28
	v_fmac_f16_e32 v28, 0xbb9c, v30
	v_sub_f16_e32 v30, v1, v9
	v_sub_f16_e32 v34, v3, v7
	v_pk_add_f16 v2, v2, v8
	v_add_f16_e32 v6, v6, v37
	v_pk_add_f16 v8, v5, v3
	v_fmac_f16_e32 v4, 0xb8b4, v36
	v_fmac_f16_e32 v28, 0x38b4, v36
	v_add_f16_e32 v36, v7, v9
	v_add_f16_e32 v30, v34, v30
	v_lshrrev_b32_e32 v34, 16, v9
	v_lshrrev_b32_e32 v37, 16, v3
	;; [unrolled: 1-line block ×3, first 2 shown]
	v_add_f16_e32 v80, v3, v1
	v_lshrrev_b32_e32 v82, 16, v7
	v_pk_add_f16 v8, v8, v7
	v_fma_f16 v83, -0.5, v36, v5
	v_sub_f16_e32 v36, v37, v77
	v_fma_f16 v80, -0.5, v80, v5
	v_sub_f16_e32 v85, v82, v34
	v_pk_add_f16 v8, v8, v9
	v_sub_f16_e32 v84, v9, v1
	v_sub_f16_e32 v9, v7, v9
	v_fmamk_f16 v88, v36, 0x3b9c, v83
	v_fmac_f16_e32 v83, 0xbb9c, v36
	v_sub_f16_e32 v7, v7, v3
	v_fmamk_f16 v90, v85, 0xbb9c, v80
	v_fmac_f16_e32 v80, 0x3b9c, v85
	v_fmac_f16_e32 v88, 0x38b4, v85
	;; [unrolled: 1-line block ×3, first 2 shown]
	v_add_f16_e32 v7, v7, v84
	v_fmac_f16_e32 v90, 0x38b4, v36
	v_fmac_f16_e32 v80, 0xb8b4, v36
	;; [unrolled: 1-line block ×8, first 2 shown]
	v_add_f16_e32 v6, v82, v34
	v_lshrrev_b32_e32 v5, 16, v5
	v_sub_f16_e32 v7, v37, v82
	v_sub_f16_e32 v30, v77, v34
	v_pk_add_f16 v0, v2, v0
	v_sub_f16_e32 v3, v3, v1
	v_fma_f16 v2, -0.5, v6, v5
	v_pk_add_f16 v1, v8, v1
	v_add_f16_e32 v6, v7, v30
	v_add_f16_e32 v7, v37, v77
	v_sub_f16_e32 v8, v82, v37
	v_fmamk_f16 v30, v3, 0xbb9c, v2
	v_fmac_f16_e32 v2, 0x3b9c, v3
	v_sub_f16_e32 v34, v34, v77
	v_fmac_f16_e32 v5, -0.5, v7
	v_mul_i32_i24_e32 v36, 10, v16
	v_fmac_f16_e32 v30, 0xb8b4, v9
	v_fmac_f16_e32 v2, 0x38b4, v9
	v_add_f16_e32 v8, v8, v34
	v_fmamk_f16 v77, v9, 0x3b9c, v5
	v_fmac_f16_e32 v5, 0xbb9c, v9
	v_fmac_f16_e32 v30, 0x34f2, v6
	;; [unrolled: 1-line block ×3, first 2 shown]
	v_mul_f16_e32 v6, 0xb8b4, v88
	v_fmac_f16_e32 v77, 0xb8b4, v3
	v_fmac_f16_e32 v5, 0x38b4, v3
	v_mul_f16_e32 v3, 0x3a79, v88
	v_mul_i32_i24_e32 v34, 10, v27
	v_mul_f16_e32 v9, 0x34f2, v80
	v_fmac_f16_e32 v77, 0x34f2, v8
	v_fmac_f16_e32 v5, 0x34f2, v8
	;; [unrolled: 1-line block ×4, first 2 shown]
	v_mul_f16_e32 v30, 0x3a79, v83
	v_mul_f16_e32 v8, 0x3b9c, v77
	v_lshl_add_u32 v37, v36, 2, 0
	v_lshl_add_u32 v36, v34, 2, 0
	v_mul_f16_e32 v34, 0xbb9c, v90
	v_fma_f16 v9, v5, 0x3b9c, -v9
	v_mul_f16_e32 v5, 0x34f2, v5
	v_fma_f16 v30, v2, 0x38b4, -v30
	v_mul_f16_e32 v2, 0x3a79, v2
	v_fmac_f16_e32 v8, 0x34f2, v90
	v_fmac_f16_e32 v34, 0x34f2, v77
	v_fma_f16 v5, v80, 0xbb9c, -v5
	v_mul_u32_u24_e32 v7, 10, v12
	v_fma_f16 v2, v83, 0xb8b4, -v2
	v_add_f16_e32 v82, v87, v3
	v_add_f16_e32 v83, v32, v8
	v_sub_f16_e32 v8, v32, v8
	v_add_f16_e32 v32, v81, v9
	v_sub_f16_e32 v9, v81, v9
	;; [unrolled: 2-line block ×7, first 2 shown]
	v_sub_f16_e32 v2, v89, v2
	v_lshl_add_u32 v7, v7, 2, 0
	v_pk_add_f16 v84, v86, v1
	v_pack_b32_f16 v79, v82, v79
	v_pack_b32_f16 v32, v32, v34
	;; [unrolled: 1-line block ×3, first 2 shown]
	v_pk_add_f16 v1, v86, v1 neg_lo:[0,1] neg_hi:[0,1]
	v_pack_b32_f16 v28, v81, v28
	v_pack_b32_f16 v3, v3, v6
	;; [unrolled: 1-line block ×5, first 2 shown]
	s_barrier
	buffer_gl0_inv
	ds_store_2addr_b32 v7, v84, v79 offset1:1
	ds_store_2addr_b32 v7, v34, v32 offset0:2 offset1:3
	ds_store_2addr_b32 v7, v28, v1 offset0:4 offset1:5
	;; [unrolled: 1-line block ×4, first 2 shown]
	v_and_b32_e32 v2, 0xffff, v16
	v_pk_add_f16 v80, v29, v10
	v_pack_b32_f16 v1, v75, v76
	v_pack_b32_f16 v3, v33, v43
	;; [unrolled: 1-line block ×3, first 2 shown]
	v_mul_u32_u24_e32 v2, 0xcccd, v2
	v_pk_add_f16 v5, v29, v10 neg_lo:[0,1] neg_hi:[0,1]
	v_pack_b32_f16 v6, v35, v44
	v_pack_b32_f16 v7, v38, v45
	;; [unrolled: 1-line block ×5, first 2 shown]
	v_pk_add_f16 v77, v0, v11
	ds_store_2addr_b32 v37, v80, v1 offset1:1
	ds_store_2addr_b32 v37, v4, v3 offset0:2 offset1:3
	ds_store_2addr_b32 v37, v6, v5 offset0:4 offset1:5
	;; [unrolled: 1-line block ×4, first 2 shown]
	v_pack_b32_f16 v1, v57, v67
	v_pack_b32_f16 v4, v56, v65
	v_and_b32_e32 v56, 0xff, v12
	v_lshrrev_b32_e32 v64, 19, v2
	v_pack_b32_f16 v2, v60, v68
	v_pk_add_f16 v0, v0, v11 neg_lo:[0,1] neg_hi:[0,1]
	v_pack_b32_f16 v5, v63, v66
	v_pack_b32_f16 v6, v69, v71
	;; [unrolled: 1-line block ×5, first 2 shown]
	ds_store_2addr_b32 v36, v77, v1 offset1:1
	ds_store_2addr_b32 v36, v4, v2 offset0:2 offset1:3
	ds_store_2addr_b32 v36, v5, v0 offset0:4 offset1:5
	;; [unrolled: 1-line block ×4, first 2 shown]
	v_mul_lo_u16 v4, 0xcd, v56
	v_mul_lo_u16 v3, v64, 10
	v_and_b32_e32 v7, 0xffff, v27
	s_waitcnt lgkmcnt(0)
	s_barrier
	v_lshrrev_b16 v41, 11, v4
	v_sub_nc_u16 v3, v16, v3
	buffer_gl0_inv
	v_add_nc_u32_e32 v28, 0xe00, v46
	v_add_nc_u32_e32 v29, 0x1a00, v46
	v_mul_lo_u16 v4, v41, 10
	v_and_b32_e32 v65, 0xffff, v3
	v_mul_u32_u24_e32 v3, 0xcccd, v7
	v_add_nc_u32_e32 v30, 0x2800, v46
	v_add_nc_u32_e32 v31, 0x3400, v46
	v_sub_nc_u16 v4, v12, v4
	v_lshlrev_b32_e32 v0, 4, v65
	v_lshrrev_b32_e32 v58, 19, v3
	v_add_nc_u32_e32 v32, 0x2c00, v46
	v_lshlrev_b32_e32 v65, 2, v65
	v_and_b32_e32 v43, 0xff, v4
	v_and_b32_e32 v4, 0xffff, v24
	v_mul_lo_u16 v1, v58, 10
	global_load_b128 v[66:69], v0, s[8:9]
	v_mul_u32_u24_e32 v64, 0xc8, v64
	v_lshlrev_b32_e32 v5, 4, v43
	v_mul_u32_u24_e32 v4, 0xcccd, v4
	v_mul_u32_u24_e32 v58, 0xc8, v58
	global_load_b128 v[8:11], v5, s[8:9]
	v_lshrrev_b32_e32 v57, 19, v4
	s_delay_alu instid0(VALU_DEP_1) | instskip(NEXT) | instid1(VALU_DEP_1)
	v_mul_lo_u16 v4, v57, 10
	v_sub_nc_u16 v4, v24, v4
	s_delay_alu instid0(VALU_DEP_1) | instskip(NEXT) | instid1(VALU_DEP_1)
	v_and_b32_e32 v63, 0xffff, v4
	v_lshlrev_b32_e32 v4, 4, v63
	v_lshlrev_b32_e32 v63, 2, v63
	global_load_b128 v[4:7], v4, s[8:9]
	v_sub_nc_u16 v0, v27, v1
	v_and_b32_e32 v1, 0xffff, v26
	s_delay_alu instid0(VALU_DEP_2) | instskip(NEXT) | instid1(VALU_DEP_2)
	v_and_b32_e32 v59, 0xffff, v0
	v_mul_u32_u24_e32 v0, 0xcccd, v1
	s_delay_alu instid0(VALU_DEP_2) | instskip(NEXT) | instid1(VALU_DEP_2)
	v_lshlrev_b32_e32 v1, 4, v59
	v_lshrrev_b32_e32 v60, 19, v0
	v_lshlrev_b32_e32 v59, 2, v59
	global_load_b128 v[91:94], v1, s[8:9]
	v_mul_lo_u16 v0, v60, 10
	v_and_b32_e32 v1, 0xffff, v25
	v_add3_u32 v58, 0, v58, v59
	s_delay_alu instid0(VALU_DEP_3) | instskip(NEXT) | instid1(VALU_DEP_1)
	v_sub_nc_u16 v0, v26, v0
	v_and_b32_e32 v61, 0xffff, v0
	s_delay_alu instid0(VALU_DEP_4) | instskip(NEXT) | instid1(VALU_DEP_2)
	v_mul_u32_u24_e32 v0, 0xcccd, v1
	v_lshlrev_b32_e32 v1, 4, v61
	s_delay_alu instid0(VALU_DEP_2) | instskip(SKIP_3) | instid1(VALU_DEP_1)
	v_lshrrev_b32_e32 v45, 19, v0
	v_lshlrev_b32_e32 v61, 2, v61
	global_load_b128 v[95:98], v1, s[8:9]
	v_mul_lo_u16 v0, v45, 10
	v_sub_nc_u16 v0, v25, v0
	s_delay_alu instid0(VALU_DEP_1) | instskip(NEXT) | instid1(VALU_DEP_1)
	v_and_b32_e32 v62, 0xffff, v0
	v_lshlrev_b32_e32 v0, 4, v62
	v_lshlrev_b32_e32 v62, 2, v62
	global_load_b128 v[0:3], v0, s[8:9]
	ds_load_2addr_b32 v[38:39], v28 offset0:49 offset1:184
	ds_load_2addr_b32 v[70:71], v29 offset0:91 offset1:226
	;; [unrolled: 1-line block ×4, first 2 shown]
	v_add_nc_u32_e32 v28, 0x1200, v46
	v_add_nc_u32_e32 v29, 0x1e00, v46
	ds_load_2addr_b32 v[34:35], v28 offset0:63 offset1:198
	ds_load_2addr_b32 v[30:31], v29 offset0:105 offset1:240
	;; [unrolled: 1-line block ×3, first 2 shown]
	v_add_nc_u32_e32 v32, 0x3800, v46
	ds_load_2addr_b32 v[32:33], v32 offset0:61 offset1:196
	s_waitcnt lgkmcnt(7)
	v_lshrrev_b32_e32 v40, 16, v38
	s_waitcnt lgkmcnt(6)
	v_lshrrev_b32_e32 v42, 16, v70
	;; [unrolled: 2-line block ×4, first 2 shown]
	v_lshrrev_b32_e32 v74, 16, v39
	v_lshrrev_b32_e32 v75, 16, v71
	;; [unrolled: 1-line block ×4, first 2 shown]
	s_waitcnt lgkmcnt(3)
	v_lshrrev_b32_e32 v101, 16, v34
	s_waitcnt lgkmcnt(2)
	v_lshrrev_b32_e32 v102, 16, v30
	;; [unrolled: 2-line block ×3, first 2 shown]
	v_lshrrev_b32_e32 v89, 16, v35
	v_lshrrev_b32_e32 v90, 16, v31
	s_waitcnt lgkmcnt(0)
	v_lshrrev_b32_e32 v109, 16, v33
	s_waitcnt vmcnt(5)
	v_lshrrev_b32_e32 v73, 16, v66
	v_lshrrev_b32_e32 v82, 16, v68
	;; [unrolled: 1-line block ×3, first 2 shown]
	s_delay_alu instid0(VALU_DEP_3) | instskip(SKIP_2) | instid1(VALU_DEP_4)
	v_mul_f16_e32 v83, v40, v73
	v_mul_f16_e32 v80, v38, v73
	v_lshrrev_b32_e32 v73, 16, v69
	v_mul_f16_e32 v81, v70, v76
	v_mul_f16_e32 v86, v42, v76
	v_fma_f16 v84, v38, v66, -v83
	v_mul_f16_e32 v38, v44, v82
	v_fmac_f16_e32 v80, v40, v66
	v_mul_f16_e32 v40, v72, v73
	v_fmac_f16_e32 v81, v42, v67
	v_mul_f16_e32 v83, v99, v73
	v_fma_f16 v87, v77, v68, -v38
	v_mul_f16_e32 v82, v77, v82
	v_fma_f16 v88, v99, v69, -v40
	v_lshrrev_b32_e32 v99, 16, v32
	v_fmac_f16_e32 v83, v72, v69
	v_fma_f16 v86, v70, v67, -v86
	v_fmac_f16_e32 v82, v44, v68
	s_waitcnt vmcnt(3)
	v_lshrrev_b32_e32 v110, 16, v7
	s_waitcnt vmcnt(2)
	v_lshrrev_b32_e32 v38, 16, v91
	v_lshrrev_b32_e32 v40, 16, v92
	s_delay_alu instid0(VALU_DEP_2) | instskip(SKIP_1) | instid1(VALU_DEP_3)
	v_mul_f16_e32 v42, v74, v38
	v_mul_f16_e32 v72, v39, v38
	;; [unrolled: 1-line block ×3, first 2 shown]
	v_lshrrev_b32_e32 v38, 16, v94
	v_mul_f16_e32 v44, v75, v40
	v_fma_f16 v77, v39, v91, -v42
	v_lshrrev_b32_e32 v42, 16, v93
	v_fmac_f16_e32 v72, v74, v91
	v_fmac_f16_e32 v73, v75, v92
	v_mul_f16_e32 v40, v85, v38
	v_mul_f16_e32 v75, v100, v38
	;; [unrolled: 1-line block ×4, first 2 shown]
	v_fma_f16 v76, v71, v92, -v44
	v_lshrrev_b32_e32 v91, 16, v29
	v_fmac_f16_e32 v75, v85, v94
	s_waitcnt vmcnt(1)
	v_lshrrev_b32_e32 v38, 16, v95
	v_fma_f16 v78, v78, v93, -v39
	v_fmac_f16_e32 v74, v79, v93
	v_fma_f16 v79, v100, v94, -v40
	v_lshrrev_b32_e32 v39, 16, v96
	v_mul_f16_e32 v40, v101, v38
	v_mul_f16_e32 v66, v34, v38
	v_lshrrev_b32_e32 v38, 16, v98
	v_lshrrev_b32_e32 v42, 16, v97
	v_mul_f16_e32 v44, v102, v39
	v_mul_f16_e32 v67, v30, v39
	v_fma_f16 v70, v34, v95, -v40
	v_mul_f16_e32 v39, v99, v38
	v_mul_f16_e32 v68, v32, v38
	v_fma_f16 v69, v30, v96, -v44
	v_mul_f16_e32 v30, v103, v42
	v_lshl_add_u32 v38, v24, 2, 0
	v_fma_f16 v32, v32, v98, -v39
	v_lshl_add_u32 v39, v25, 2, 0
	v_mul_f16_e32 v34, v28, v42
	v_mad_i32_i24 v42, 0xffffffdc, v16, v37
	s_waitcnt vmcnt(0)
	v_lshrrev_b32_e32 v44, 16, v0
	v_lshl_add_u32 v40, v23, 2, 0
	v_fmac_f16_e32 v67, v102, v96
	v_fma_f16 v71, v28, v97, -v30
	v_lshrrev_b32_e32 v93, 16, v1
	ds_load_b32 v30, v39
	ds_load_b32 v28, v38
	ds_load_b32 v85, v42
	ds_load_b32 v96, v40
	v_mul_f16_e32 v94, v89, v44
	v_lshrrev_b32_e32 v92, 16, v2
	v_fmac_f16_e32 v66, v101, v95
	v_mul_f16_e32 v95, v90, v93
	v_fmac_f16_e32 v68, v99, v98
	v_fma_f16 v102, v35, v0, -v94
	v_mul_f16_e32 v99, v35, v44
	v_mul_f16_e32 v35, v91, v92
	v_fmac_f16_e32 v34, v103, v97
	v_add_nc_u32_e32 v44, 0x1600, v46
	v_fma_f16 v103, v31, v1, -v95
	v_mul_f16_e32 v100, v31, v93
	v_add_nc_u32_e32 v31, 0x2200, v46
	v_fma_f16 v105, v29, v2, -v35
	v_add_nc_u32_e32 v35, 0x3000, v46
	ds_load_2addr_b32 v[93:94], v44 offset0:77 offset1:212
	v_mul_f16_e32 v101, v29, v92
	ds_load_2addr_b32 v[97:98], v31 offset0:119 offset1:254
	ds_load_2addr_b32 v[107:108], v35 offset0:33 offset1:168
	ds_load_b32 v31, v46 offset:15660
	v_lshrrev_b32_e32 v29, 16, v8
	s_waitcnt lgkmcnt(4)
	v_lshrrev_b32_e32 v35, 16, v96
	v_lshrrev_b32_e32 v104, 16, v3
	v_fmac_f16_e32 v99, v89, v0
	v_fmac_f16_e32 v100, v90, v1
	v_mul_f16_e32 v1, v29, v96
	v_mul_f16_e32 v0, v29, v35
	;; [unrolled: 1-line block ×4, first 2 shown]
	v_fmac_f16_e32 v101, v91, v2
	v_lshrrev_b32_e32 v2, 16, v9
	v_fma_f16 v0, v8, v96, -v0
	v_fmac_f16_e32 v1, v8, v35
	v_lshrrev_b32_e32 v8, 16, v10
	v_fma_f16 v106, v33, v3, -v95
	v_fmac_f16_e32 v104, v109, v3
	s_waitcnt lgkmcnt(3)
	v_lshrrev_b32_e32 v3, 16, v94
	v_mul_f16_e32 v29, v94, v2
	s_waitcnt lgkmcnt(2)
	v_lshrrev_b32_e32 v33, 16, v98
	v_lshrrev_b32_e32 v35, 16, v11
	v_mul_f16_e32 v89, v98, v8
	s_waitcnt lgkmcnt(1)
	v_lshrrev_b32_e32 v90, 16, v108
	v_mul_f16_e32 v2, v3, v2
	v_fmac_f16_e32 v29, v3, v9
	v_mul_f16_e32 v3, v33, v8
	v_mul_f16_e32 v8, v108, v35
	v_fmac_f16_e32 v89, v33, v10
	v_mul_f16_e32 v33, v90, v35
	v_lshrrev_b32_e32 v35, 16, v93
	v_lshrrev_b32_e32 v91, 16, v4
	v_fmac_f16_e32 v8, v90, v11
	v_fma_f16 v2, v94, v9, -v2
	v_fma_f16 v3, v98, v10, -v3
	;; [unrolled: 1-line block ×3, first 2 shown]
	v_mul_f16_e32 v10, v35, v91
	v_lshrrev_b32_e32 v11, 16, v97
	v_lshrrev_b32_e32 v33, 16, v5
	ds_load_b32 v108, v46
	v_lshrrev_b32_e32 v90, 16, v107
	v_lshrrev_b32_e32 v92, 16, v6
	v_fma_f16 v95, v93, v4, -v10
	v_mul_f16_e32 v10, v11, v33
	s_waitcnt lgkmcnt(1)
	v_lshrrev_b32_e32 v109, 16, v31
	v_mul_f16_e32 v93, v93, v91
	v_mul_f16_e32 v98, v90, v92
	;; [unrolled: 1-line block ×3, first 2 shown]
	v_fma_f16 v96, v97, v5, -v10
	v_mul_f16_e32 v91, v107, v92
	v_mul_f16_e32 v10, v109, v110
	;; [unrolled: 1-line block ×3, first 2 shown]
	v_fma_f16 v97, v107, v6, -v98
	v_fmac_f16_e32 v93, v35, v4
	v_fmac_f16_e32 v94, v11, v5
	v_fma_f16 v98, v31, v7, -v10
	v_sub_f16_e32 v4, v0, v2
	v_sub_f16_e32 v5, v9, v3
	v_fmac_f16_e32 v92, v109, v7
	v_and_b32_e32 v7, 0xffff, v41
	v_fmac_f16_e32 v91, v90, v6
	v_sub_f16_e32 v6, v1, v29
	v_sub_f16_e32 v10, v8, v89
	v_add_f16_e32 v4, v4, v5
	s_waitcnt lgkmcnt(0)
	v_lshrrev_b32_e32 v5, 16, v108
	v_lshlrev_b32_e32 v11, 2, v43
	v_mul_u32_u24_e32 v7, 0xc8, v7
	v_add_f16_e32 v10, v6, v10
	v_add_f16_e32 v6, v108, v0
	;; [unrolled: 1-line block ×4, first 2 shown]
	v_add3_u32 v7, 0, v7, v11
	v_add_f16_e32 v11, v29, v89
	v_add_f16_e32 v6, v6, v2
	;; [unrolled: 1-line block ×3, first 2 shown]
	v_fma_f16 v35, -0.5, v33, v108
	v_sub_f16_e32 v33, v1, v8
	v_fma_f16 v11, -0.5, v11, v5
	v_sub_f16_e32 v90, v0, v9
	v_add_f16_e32 v6, v6, v3
	v_add_f16_e32 v31, v31, v89
	v_fmamk_f16 v107, v33, 0x3b9c, v35
	v_sub_f16_e32 v109, v29, v89
	v_fmamk_f16 v110, v90, 0xbb9c, v11
	v_sub_f16_e32 v111, v2, v3
	v_add_f16_e32 v6, v6, v9
	v_add_f16_e32 v31, v31, v8
	v_fmac_f16_e32 v107, 0x38b4, v109
	v_sub_f16_e32 v2, v2, v0
	v_fmac_f16_e32 v110, 0xb8b4, v111
	v_sub_f16_e32 v3, v3, v9
	v_pack_b32_f16 v31, v6, v31
	v_fmac_f16_e32 v107, 0x34f2, v4
	v_add_f16_e32 v6, v0, v9
	v_fmac_f16_e32 v110, 0x34f2, v10
	v_add_f16_e32 v2, v2, v3
	v_fmac_f16_e32 v11, 0x3b9c, v90
	v_lshl_add_u32 v41, v26, 2, 0
	v_fmac_f16_e32 v108, -0.5, v6
	v_pack_b32_f16 v9, v107, v110
	v_add_f16_e32 v107, v1, v8
	v_mad_i32_i24 v43, 0xffffffdc, v27, v36
	v_sub_f16_e32 v1, v29, v1
	v_fmamk_f16 v3, v109, 0xbb9c, v108
	v_fmac_f16_e32 v108, 0x3b9c, v109
	v_fmac_f16_e32 v5, -0.5, v107
	v_sub_f16_e32 v8, v89, v8
	v_fmac_f16_e32 v35, 0xbb9c, v33
	v_fmac_f16_e32 v3, 0x38b4, v33
	;; [unrolled: 1-line block ×3, first 2 shown]
	v_fmamk_f16 v29, v111, 0x3b9c, v5
	v_fmac_f16_e32 v5, 0xbb9c, v111
	v_fmac_f16_e32 v11, 0x38b4, v111
	v_lshrrev_b32_e32 v33, 16, v85
	ds_load_b32 v0, v41
	ds_load_b32 v6, v43
	s_waitcnt lgkmcnt(0)
	s_barrier
	v_add_f16_e32 v1, v1, v8
	v_fmac_f16_e32 v29, 0xb8b4, v90
	buffer_gl0_inv
	v_fmac_f16_e32 v5, 0x38b4, v90
	ds_store_2addr_b32 v7, v31, v9 offset1:10
	v_fmac_f16_e32 v11, 0x34f2, v10
	v_add_f16_e32 v9, v85, v84
	v_add_f16_e32 v10, v33, v80
	v_fmac_f16_e32 v3, 0x34f2, v2
	v_fmac_f16_e32 v108, 0x34f2, v2
	;; [unrolled: 1-line block ×4, first 2 shown]
	v_add_f16_e32 v9, v9, v86
	v_add_f16_e32 v10, v10, v81
	v_fmac_f16_e32 v35, 0xb8b4, v109
	v_pack_b32_f16 v1, v3, v29
	v_pack_b32_f16 v2, v108, v5
	v_sub_f16_e32 v3, v84, v86
	v_sub_f16_e32 v5, v88, v87
	v_add_f16_e32 v9, v9, v87
	v_add_f16_e32 v10, v10, v82
	v_fmac_f16_e32 v35, 0x34f2, v4
	v_sub_f16_e32 v4, v80, v81
	v_sub_f16_e32 v8, v83, v82
	v_add_f16_e32 v3, v3, v5
	v_add_f16_e32 v5, v86, v87
	;; [unrolled: 1-line block ×6, first 2 shown]
	v_fma_f16 v89, -0.5, v5, v85
	v_sub_f16_e32 v5, v80, v83
	v_pack_b32_f16 v9, v9, v10
	v_add_f16_e32 v10, v84, v88
	v_fma_f16 v90, -0.5, v8, v33
	v_sub_f16_e32 v8, v84, v88
	v_fmamk_f16 v29, v5, 0x3b9c, v89
	v_sub_f16_e32 v31, v81, v82
	v_fmac_f16_e32 v89, 0xbb9c, v5
	v_fmac_f16_e32 v85, -0.5, v10
	v_fmamk_f16 v107, v8, 0xbb9c, v90
	v_sub_f16_e32 v108, v86, v87
	v_fmac_f16_e32 v29, 0x38b4, v31
	v_pack_b32_f16 v11, v35, v11
	ds_store_2addr_b32 v7, v1, v2 offset0:20 offset1:30
	v_sub_f16_e32 v1, v86, v84
	v_fmac_f16_e32 v89, 0xb8b4, v31
	v_sub_f16_e32 v2, v87, v88
	v_fmamk_f16 v84, v31, 0xbb9c, v85
	v_fmac_f16_e32 v85, 0x3b9c, v31
	v_fmac_f16_e32 v90, 0x3b9c, v8
	;; [unrolled: 1-line block ×4, first 2 shown]
	ds_store_b32 v7, v11 offset:160
	v_add_f16_e32 v7, v80, v83
	v_fmac_f16_e32 v89, 0x34f2, v3
	v_add_f16_e32 v1, v1, v2
	v_fmac_f16_e32 v84, 0x38b4, v5
	v_fmac_f16_e32 v85, 0xb8b4, v5
	v_sub_f16_e32 v2, v81, v80
	v_sub_f16_e32 v3, v82, v83
	v_fmac_f16_e32 v90, 0x38b4, v108
	v_fmac_f16_e32 v107, 0x34f2, v4
	v_fmac_f16_e32 v33, -0.5, v7
	v_fmac_f16_e32 v84, 0x34f2, v1
	v_fmac_f16_e32 v85, 0x34f2, v1
	;; [unrolled: 1-line block ×3, first 2 shown]
	v_add_f16_e32 v2, v2, v3
	v_add_f16_e32 v1, v76, v78
	v_sub_f16_e32 v3, v77, v76
	v_sub_f16_e32 v4, v79, v78
	v_fmamk_f16 v80, v108, 0x3b9c, v33
	v_fmac_f16_e32 v33, 0xbb9c, v108
	v_fma_f16 v1, -0.5, v1, v6
	v_sub_f16_e32 v5, v72, v75
	v_add_f16_e32 v3, v3, v4
	v_add_f16_e32 v4, v77, v79
	;; [unrolled: 1-line block ×3, first 2 shown]
	v_add3_u32 v35, 0, v64, v65
	v_pack_b32_f16 v29, v29, v107
	v_fmac_f16_e32 v80, 0xb8b4, v8
	v_fmac_f16_e32 v33, 0x38b4, v8
	v_lshrrev_b32_e32 v81, 16, v6
	v_fmamk_f16 v82, v5, 0x3b9c, v1
	v_sub_f16_e32 v8, v73, v74
	v_fmac_f16_e32 v6, -0.5, v4
	v_fmac_f16_e32 v1, 0xbb9c, v5
	v_add_f16_e32 v7, v7, v76
	ds_store_2addr_b32 v35, v9, v29 offset1:10
	v_sub_f16_e32 v4, v76, v77
	v_sub_f16_e32 v9, v78, v79
	v_fmac_f16_e32 v82, 0x38b4, v8
	v_fmamk_f16 v83, v8, 0xbb9c, v6
	v_fmac_f16_e32 v6, 0x3b9c, v8
	v_fmac_f16_e32 v1, 0xb8b4, v8
	v_fmac_f16_e32 v80, 0x34f2, v2
	v_fmac_f16_e32 v33, 0x34f2, v2
	v_add_f16_e32 v2, v7, v78
	v_add_f16_e32 v4, v4, v9
	v_fmac_f16_e32 v83, 0x38b4, v5
	v_fmac_f16_e32 v6, 0xb8b4, v5
	;; [unrolled: 1-line block ×4, first 2 shown]
	v_add_f16_e32 v86, v2, v79
	v_add_f16_e32 v2, v81, v72
	;; [unrolled: 1-line block ×3, first 2 shown]
	v_fmac_f16_e32 v83, 0x34f2, v4
	v_fmac_f16_e32 v6, 0x34f2, v4
	v_sub_f16_e32 v4, v77, v79
	v_sub_f16_e32 v5, v72, v73
	;; [unrolled: 1-line block ×3, first 2 shown]
	v_add_f16_e32 v8, v2, v73
	v_fma_f16 v2, -0.5, v3, v81
	v_sub_f16_e32 v3, v76, v78
	v_add_f16_e32 v9, v72, v75
	v_add_f16_e32 v5, v5, v7
	;; [unrolled: 1-line block ×3, first 2 shown]
	v_fmamk_f16 v79, v4, 0xbb9c, v2
	v_fmac_f16_e32 v2, 0x3b9c, v4
	v_fmac_f16_e32 v81, -0.5, v9
	v_sub_f16_e32 v8, v73, v72
	v_add_f16_e32 v87, v7, v75
	v_fmac_f16_e32 v79, 0xb8b4, v3
	v_fmac_f16_e32 v2, 0x38b4, v3
	v_sub_f16_e32 v7, v74, v75
	v_fmamk_f16 v88, v3, 0x3b9c, v81
	v_fmac_f16_e32 v81, 0xbb9c, v3
	v_fmac_f16_e32 v79, 0x34f2, v5
	;; [unrolled: 1-line block ×3, first 2 shown]
	v_add_f16_e32 v3, v8, v7
	v_add_f16_e32 v5, v69, v71
	v_sub_f16_e32 v7, v70, v69
	v_sub_f16_e32 v8, v32, v71
	v_add_f16_e32 v10, v70, v32
	v_fmac_f16_e32 v88, 0xb8b4, v4
	v_fmac_f16_e32 v81, 0x38b4, v4
	v_fma_f16 v5, -0.5, v5, v0
	v_sub_f16_e32 v4, v66, v68
	v_add_f16_e32 v9, v7, v8
	v_lshrrev_b32_e32 v7, 16, v0
	v_add_f16_e32 v11, v0, v70
	v_sub_f16_e32 v29, v67, v34
	v_fmac_f16_e32 v0, -0.5, v10
	v_fmamk_f16 v8, v4, 0x3b9c, v5
	v_fmac_f16_e32 v5, 0xbb9c, v4
	v_sub_f16_e32 v31, v69, v70
	v_sub_f16_e32 v64, v71, v32
	v_fmamk_f16 v10, v29, 0xbb9c, v0
	v_fmac_f16_e32 v0, 0x3b9c, v29
	v_add_f16_e32 v11, v11, v69
	v_fmac_f16_e32 v8, 0x38b4, v29
	v_fmac_f16_e32 v5, 0xb8b4, v29
	v_add_f16_e32 v29, v31, v64
	v_fmac_f16_e32 v10, 0x38b4, v4
	v_fmac_f16_e32 v0, 0xb8b4, v4
	;; [unrolled: 1-line block ×4, first 2 shown]
	v_add_f16_e32 v3, v11, v71
	v_fmac_f16_e32 v10, 0x34f2, v29
	v_fmac_f16_e32 v0, 0x34f2, v29
	v_add_f16_e32 v4, v67, v34
	v_fmac_f16_e32 v8, 0x34f2, v9
	v_add_f16_e32 v29, v3, v32
	v_add_f16_e32 v3, v7, v66
	v_fmac_f16_e32 v5, 0x34f2, v9
	v_sub_f16_e32 v9, v70, v32
	v_fma_f16 v31, -0.5, v4, v7
	v_sub_f16_e32 v11, v66, v67
	v_add_f16_e32 v3, v3, v67
	v_sub_f16_e32 v32, v68, v34
	v_sub_f16_e32 v4, v69, v71
	v_fmamk_f16 v64, v9, 0xbb9c, v31
	v_fmac_f16_e32 v31, 0x3b9c, v9
	v_add_f16_e32 v3, v3, v34
	v_add_f16_e32 v65, v66, v68
	;; [unrolled: 1-line block ×3, first 2 shown]
	v_sub_f16_e32 v32, v67, v66
	v_fmac_f16_e32 v64, 0xb8b4, v4
	v_add_f16_e32 v69, v3, v68
	v_fmac_f16_e32 v31, 0x38b4, v4
	v_sub_f16_e32 v3, v34, v68
	v_fmac_f16_e32 v7, -0.5, v65
	v_fmac_f16_e32 v64, 0x34f2, v11
	v_sub_f16_e32 v34, v99, v104
	v_fmac_f16_e32 v31, 0x34f2, v11
	v_add_f16_e32 v11, v32, v3
	v_add_f16_e32 v3, v103, v105
	v_fmamk_f16 v66, v4, 0x3b9c, v7
	v_fmac_f16_e32 v7, 0xbb9c, v4
	v_add_f16_e32 v65, v30, v102
	v_sub_f16_e32 v4, v102, v103
	v_fma_f16 v3, -0.5, v3, v30
	v_sub_f16_e32 v32, v106, v105
	v_fmac_f16_e32 v66, 0xb8b4, v9
	v_fmac_f16_e32 v7, 0x38b4, v9
	v_add_f16_e32 v9, v102, v106
	v_fmamk_f16 v70, v34, 0x3b9c, v3
	v_sub_f16_e32 v67, v100, v101
	v_fmac_f16_e32 v3, 0xbb9c, v34
	v_add_f16_e32 v65, v65, v103
	v_add_f16_e32 v32, v4, v32
	v_lshrrev_b32_e32 v4, 16, v30
	v_fmac_f16_e32 v30, -0.5, v9
	v_fmac_f16_e32 v70, 0x38b4, v67
	v_fmac_f16_e32 v3, 0xb8b4, v67
	v_fmac_f16_e32 v66, 0x34f2, v11
	v_fmac_f16_e32 v7, 0x34f2, v11
	v_add_f16_e32 v11, v65, v105
	v_sub_f16_e32 v68, v103, v102
	v_sub_f16_e32 v71, v105, v106
	v_fmamk_f16 v9, v67, 0xbb9c, v30
	v_fmac_f16_e32 v30, 0x3b9c, v67
	v_fmac_f16_e32 v70, 0x34f2, v32
	;; [unrolled: 1-line block ×3, first 2 shown]
	v_add_f16_e32 v74, v11, v106
	v_add_f16_e32 v11, v4, v99
	;; [unrolled: 1-line block ×4, first 2 shown]
	v_fmac_f16_e32 v9, 0x38b4, v34
	v_fmac_f16_e32 v30, 0xb8b4, v34
	v_sub_f16_e32 v65, v102, v106
	v_add_f16_e32 v68, v11, v100
	v_fma_f16 v11, -0.5, v32, v4
	v_fmac_f16_e32 v9, 0x34f2, v67
	v_fmac_f16_e32 v30, 0x34f2, v67
	v_sub_f16_e32 v34, v99, v100
	v_sub_f16_e32 v67, v104, v101
	;; [unrolled: 1-line block ×3, first 2 shown]
	v_add_f16_e32 v71, v99, v104
	v_fmamk_f16 v77, v65, 0xbb9c, v11
	v_fmac_f16_e32 v11, 0x3b9c, v65
	v_add_f16_e32 v67, v34, v67
	v_add_f16_e32 v34, v68, v101
	v_fmac_f16_e32 v4, -0.5, v71
	v_fmac_f16_e32 v77, 0xb8b4, v32
	v_fmac_f16_e32 v11, 0x38b4, v32
	v_sub_f16_e32 v68, v100, v99
	v_add_f16_e32 v78, v34, v104
	v_sub_f16_e32 v71, v101, v104
	v_fmamk_f16 v34, v32, 0x3b9c, v4
	v_fmac_f16_e32 v4, 0xbb9c, v32
	v_fmac_f16_e32 v77, 0x34f2, v67
	;; [unrolled: 1-line block ×3, first 2 shown]
	v_sub_f16_e32 v32, v95, v96
	v_sub_f16_e32 v67, v98, v97
	v_add_f16_e32 v71, v68, v71
	v_add_f16_e32 v68, v96, v97
	v_fmac_f16_e32 v34, 0xb8b4, v65
	v_fmac_f16_e32 v4, 0x38b4, v65
	v_add_f16_e32 v72, v32, v67
	v_add_f16_e32 v67, v95, v98
	v_fma_f16 v32, -0.5, v68, v28
	v_sub_f16_e32 v73, v93, v92
	v_lshrrev_b32_e32 v65, 16, v28
	v_add_f16_e32 v75, v28, v95
	v_fmac_f16_e32 v28, -0.5, v67
	v_sub_f16_e32 v76, v94, v91
	v_fmamk_f16 v67, v73, 0x3b9c, v32
	v_fmac_f16_e32 v32, 0xbb9c, v73
	v_sub_f16_e32 v99, v96, v95
	v_sub_f16_e32 v100, v97, v98
	v_fmamk_f16 v68, v76, 0xbb9c, v28
	v_fmac_f16_e32 v28, 0x3b9c, v76
	v_add_f16_e32 v75, v75, v96
	v_fmac_f16_e32 v67, 0x38b4, v76
	v_fmac_f16_e32 v32, 0xb8b4, v76
	v_add_f16_e32 v76, v99, v100
	v_fmac_f16_e32 v68, 0x38b4, v73
	v_fmac_f16_e32 v28, 0xb8b4, v73
	;; [unrolled: 1-line block ×4, first 2 shown]
	v_add_f16_e32 v71, v75, v97
	v_add_f16_e32 v73, v94, v91
	v_pack_b32_f16 v80, v84, v80
	v_pack_b32_f16 v33, v85, v33
	;; [unrolled: 1-line block ×3, first 2 shown]
	v_fmac_f16_e32 v67, 0x34f2, v72
	v_fmac_f16_e32 v32, 0x34f2, v72
	;; [unrolled: 1-line block ×4, first 2 shown]
	v_add_f16_e32 v72, v71, v98
	v_sub_f16_e32 v76, v95, v98
	v_fma_f16 v71, -0.5, v73, v65
	v_add_f16_e32 v98, v93, v92
	v_add_f16_e32 v99, v65, v93
	v_pack_b32_f16 v59, v86, v87
	v_pack_b32_f16 v79, v82, v79
	v_pack_b32_f16 v82, v83, v88
	v_pack_b32_f16 v6, v6, v81
	ds_store_2addr_b32 v35, v80, v33 offset0:20 offset1:30
	v_mul_u32_u24_e32 v33, 0xc8, v60
	ds_store_b32 v35, v84 offset:160
	ds_store_2addr_b32 v58, v59, v79 offset1:10
	ds_store_2addr_b32 v58, v82, v6 offset0:20 offset1:30
	v_pack_b32_f16 v6, v29, v69
	v_mul_u32_u24_e32 v29, 0xc8, v45
	v_sub_f16_e32 v75, v93, v94
	v_sub_f16_e32 v95, v92, v91
	;; [unrolled: 1-line block ×3, first 2 shown]
	v_fmamk_f16 v73, v76, 0xbb9c, v71
	v_fmac_f16_e32 v65, -0.5, v98
	v_add_f16_e32 v97, v99, v94
	v_pack_b32_f16 v1, v1, v2
	v_add3_u32 v2, 0, v33, v61
	v_pack_b32_f16 v8, v8, v64
	v_pack_b32_f16 v10, v10, v66
	;; [unrolled: 1-line block ×4, first 2 shown]
	v_add3_u32 v29, 0, v29, v62
	v_pack_b32_f16 v7, v74, v78
	v_pack_b32_f16 v31, v70, v77
	v_add_f16_e32 v95, v75, v95
	v_sub_f16_e32 v93, v94, v93
	v_fmac_f16_e32 v73, 0xb8b4, v96
	v_sub_f16_e32 v94, v91, v92
	v_fmamk_f16 v75, v96, 0x3b9c, v65
	v_fmac_f16_e32 v65, 0xbb9c, v96
	v_add_f16_e32 v91, v97, v91
	ds_store_b32 v58, v1 offset:160
	ds_store_2addr_b32 v2, v6, v8 offset1:10
	ds_store_2addr_b32 v2, v10, v0 offset0:20 offset1:30
	ds_store_b32 v2, v5 offset:160
	ds_store_2addr_b32 v29, v7, v31 offset1:10
	v_lshrrev_b16 v0, 1, v16
	v_mul_lo_u16 v2, v56, 41
	v_fmac_f16_e32 v71, 0x3b9c, v76
	v_fmac_f16_e32 v75, 0xb8b4, v76
	;; [unrolled: 1-line block ×3, first 2 shown]
	v_add_f16_e32 v76, v91, v92
	v_fmac_f16_e32 v73, 0x34f2, v95
	v_pack_b32_f16 v1, v9, v34
	v_pack_b32_f16 v4, v30, v4
	v_and_b32_e32 v0, 0xffff, v0
	v_mul_u32_u24_e32 v5, 0xc8, v57
	v_lshrrev_b16 v7, 11, v2
	v_pack_b32_f16 v3, v3, v11
	v_add_f16_e32 v93, v93, v94
	ds_store_2addr_b32 v29, v1, v4 offset0:20 offset1:30
	ds_store_b32 v29, v3 offset:160
	v_mul_u32_u24_e32 v0, 0x147b, v0
	v_add3_u32 v1, 0, v5, v63
	v_mul_lo_u16 v2, v7, 50
	v_pack_b32_f16 v3, v72, v76
	v_pack_b32_f16 v4, v67, v73
	v_lshrrev_b16 v9, 1, v27
	v_fmac_f16_e32 v75, 0x34f2, v93
	v_fmac_f16_e32 v65, 0x34f2, v93
	v_lshrrev_b32_e32 v5, 17, v0
	v_sub_nc_u16 v2, v12, v2
	ds_store_2addr_b32 v1, v3, v4 offset1:10
	v_and_b32_e32 v4, 0xffff, v9
	v_pack_b32_f16 v0, v68, v75
	v_pack_b32_f16 v6, v28, v65
	v_mul_lo_u16 v10, v5, 50
	v_and_b32_e32 v29, 0xff, v2
	v_mul_u32_u24_e32 v2, 0x147b, v4
	v_fmac_f16_e32 v71, 0x38b4, v96
	ds_store_2addr_b32 v1, v0, v6 offset0:20 offset1:30
	v_sub_nc_u16 v0, v16, v10
	v_lshrrev_b16 v3, 1, v26
	v_lshrrev_b32_e32 v11, 17, v2
	v_fmac_f16_e32 v71, 0x34f2, v95
	v_lshrrev_b16 v45, 1, v21
	v_and_b32_e32 v35, 0xffff, v0
	v_and_b32_e32 v6, 0xffff, v3
	v_mul_lo_u16 v0, v11, 50
	v_pack_b32_f16 v8, v32, v71
	v_lshrrev_b16 v3, 1, v25
	v_and_b32_e32 v7, 0xffff, v7
	v_mul_u32_u24_e32 v2, 0x147b, v6
	v_sub_nc_u16 v0, v27, v0
	ds_store_b32 v1, v8 offset:160
	v_lshlrev_b32_e32 v1, 3, v29
	s_waitcnt lgkmcnt(0)
	v_lshrrev_b32_e32 v34, 17, v2
	v_and_b32_e32 v64, 0xffff, v0
	s_barrier
	buffer_gl0_inv
	global_load_b64 v[56:57], v1, s[8:9] offset:160
	v_and_b32_e32 v8, 0xffff, v3
	v_lshlrev_b32_e32 v2, 3, v64
	v_mul_lo_u16 v0, v34, 50
	v_lshrrev_b16 v3, 1, v23
	v_mul_u32_u24_e32 v7, 0x258, v7
	v_lshlrev_b32_e32 v29, 2, v29
	global_load_b64 v[68:69], v2, s[8:9] offset:160
	v_lshlrev_b32_e32 v1, 3, v35
	v_sub_nc_u16 v0, v26, v0
	v_and_b32_e32 v28, 0xffff, v3
	v_lshrrev_b16 v3, 1, v22
	v_add3_u32 v7, 0, v7, v29
	global_load_b64 v[66:67], v1, s[8:9] offset:160
	v_mul_u32_u24_e32 v1, 0x147b, v8
	v_and_b32_e32 v60, 0xffff, v0
	v_mul_u32_u24_e32 v31, 0x147b, v28
	v_and_b32_e32 v30, 0xffff, v3
	v_mul_u32_u24_e32 v5, 0x258, v5
	v_lshrrev_b32_e32 v9, 17, v1
	v_lshrrev_b16 v1, 1, v24
	v_lshlrev_b32_e32 v35, 2, v35
	v_mul_u32_u24_e32 v11, 0x258, v11
	v_lshlrev_b32_e32 v64, 2, v64
	v_mul_lo_u16 v0, v9, 50
	v_and_b32_e32 v10, 0xffff, v1
	v_lshlrev_b32_e32 v1, 3, v60
	v_add3_u32 v5, 0, v5, v35
	v_add3_u32 v11, 0, v11, v64
	v_sub_nc_u16 v0, v25, v0
	v_mul_u32_u24_e32 v2, 0x147b, v10
	global_load_b64 v[70:71], v1, s[8:9] offset:160
	v_mul_u32_u24_e32 v34, 0x258, v34
	v_lshlrev_b32_e32 v60, 2, v60
	v_and_b32_e32 v33, 0xffff, v0
	v_mul_u32_u24_e32 v9, 0x258, v9
	v_mul_u32_u24_e32 v8, 0xda75, v8
	s_delay_alu instid0(VALU_DEP_4) | instskip(NEXT) | instid1(VALU_DEP_4)
	v_add3_u32 v34, 0, v34, v60
	v_lshlrev_b32_e32 v0, 3, v33
	v_lshlrev_b32_e32 v33, 2, v33
	global_load_b64 v[72:73], v0, s[8:9] offset:160
	v_lshrrev_b32_e32 v1, 17, v2
	v_add3_u32 v9, 0, v9, v33
	s_delay_alu instid0(VALU_DEP_2) | instskip(SKIP_1) | instid1(VALU_DEP_2)
	v_mul_lo_u16 v2, v1, 50
	v_mul_u32_u24_e32 v1, 0x258, v1
	v_sub_nc_u16 v0, v24, v2
	v_lshrrev_b32_e32 v2, 17, v31
	s_delay_alu instid0(VALU_DEP_2) | instskip(NEXT) | instid1(VALU_DEP_2)
	v_and_b32_e32 v3, 0xffff, v0
	v_mul_lo_u16 v31, v2, 50
	v_mul_u32_u24_e32 v0, 0x147b, v30
	v_mul_u32_u24_e32 v2, 0x258, v2
	;; [unrolled: 1-line block ×3, first 2 shown]
	v_lshlrev_b32_e32 v32, 3, v3
	v_sub_nc_u16 v31, v23, v31
	v_lshrrev_b32_e32 v0, 17, v0
	v_lshlrev_b32_e32 v3, 2, v3
	v_lshrrev_b32_e32 v30, 22, v30
	global_load_b64 v[74:75], v32, s[8:9] offset:160
	v_and_b32_e32 v65, 0xffff, v31
	v_and_b32_e32 v31, 0xffff, v45
	v_add3_u32 v1, 0, v1, v3
	s_delay_alu instid0(VALU_DEP_3) | instskip(NEXT) | instid1(VALU_DEP_3)
	v_lshlrev_b32_e32 v45, 3, v65
	v_mul_u32_u24_e32 v58, 0x147b, v31
	v_mul_u32_u24_e32 v31, 0xda75, v31
	global_load_b64 v[76:77], v45, s[8:9] offset:160
	v_lshrrev_b32_e32 v59, 17, v58
	v_lshrrev_b32_e32 v31, 22, v31
	s_delay_alu instid0(VALU_DEP_2) | instskip(NEXT) | instid1(VALU_DEP_1)
	v_mul_lo_u16 v58, v59, 50
	v_sub_nc_u16 v62, v21, v58
	s_delay_alu instid0(VALU_DEP_1) | instskip(NEXT) | instid1(VALU_DEP_1)
	v_and_b32_e32 v63, 0xffff, v62
	v_lshlrev_b32_e32 v62, 3, v63
	global_load_b64 v[80:81], v62, s[8:9] offset:160
	v_mul_lo_u16 v32, v0, 50
	v_mul_u32_u24_e32 v0, 0x258, v0
	s_delay_alu instid0(VALU_DEP_2) | instskip(NEXT) | instid1(VALU_DEP_1)
	v_sub_nc_u16 v32, v22, v32
	v_and_b32_e32 v61, 0xffff, v32
	v_lshrrev_b16 v32, 1, v20
	s_delay_alu instid0(VALU_DEP_2) | instskip(NEXT) | instid1(VALU_DEP_2)
	v_lshlrev_b32_e32 v45, 3, v61
	v_and_b32_e32 v32, 0xffff, v32
	global_load_b64 v[78:79], v45, s[8:9] offset:160
	v_mul_u32_u24_e32 v45, 0x147b, v32
	v_mul_u32_u24_e32 v32, 0xda75, v32
	s_delay_alu instid0(VALU_DEP_2) | instskip(NEXT) | instid1(VALU_DEP_2)
	v_lshrrev_b32_e32 v58, 17, v45
	v_lshrrev_b32_e32 v32, 22, v32
	s_delay_alu instid0(VALU_DEP_2) | instskip(NEXT) | instid1(VALU_DEP_2)
	v_mul_lo_u16 v45, v58, 50
	v_mul_lo_u16 v32, 0x96, v32
	s_delay_alu instid0(VALU_DEP_2) | instskip(NEXT) | instid1(VALU_DEP_2)
	v_sub_nc_u16 v45, v20, v45
	v_sub_nc_u16 v32, v20, v32
	s_delay_alu instid0(VALU_DEP_2) | instskip(NEXT) | instid1(VALU_DEP_2)
	v_and_b32_e32 v62, 0xffff, v45
	v_and_b32_e32 v32, 0xffff, v32
	s_delay_alu instid0(VALU_DEP_2)
	v_lshlrev_b32_e32 v45, 3, v62
	global_load_b64 v[82:83], v45, s[8:9] offset:160
	ds_load_2addr_b32 v[84:85], v51 offset0:70 offset1:205
	ds_load_2addr_b32 v[86:87], v50 offset0:12 offset1:147
	;; [unrolled: 1-line block ×4, first 2 shown]
	s_waitcnt lgkmcnt(3)
	v_lshrrev_b32_e32 v95, 16, v84
	s_waitcnt lgkmcnt(2)
	v_lshrrev_b32_e32 v97, 16, v86
	v_lshrrev_b32_e32 v92, 16, v85
	;; [unrolled: 1-line block ×3, first 2 shown]
	s_waitcnt vmcnt(9)
	v_lshrrev_b32_e32 v45, 16, v56
	v_lshrrev_b32_e32 v93, 16, v57
	s_delay_alu instid0(VALU_DEP_2) | instskip(NEXT) | instid1(VALU_DEP_2)
	v_mul_f16_e32 v96, v45, v84
	v_mul_f16_e32 v98, v93, v86
	;; [unrolled: 1-line block ×4, first 2 shown]
	s_delay_alu instid0(VALU_DEP_4) | instskip(NEXT) | instid1(VALU_DEP_4)
	v_fmac_f16_e32 v96, v56, v95
	v_fmac_f16_e32 v98, v57, v97
	s_delay_alu instid0(VALU_DEP_4)
	v_fma_f16 v84, v56, v84, -v45
	s_waitcnt vmcnt(7)
	v_lshrrev_b32_e32 v99, 16, v66
	v_lshrrev_b32_e32 v95, 16, v67
	v_fma_f16 v86, v57, v86, -v93
	ds_load_2addr_b32 v[56:57], v49 offset0:98 offset1:233
	v_add_f16_e32 v116, v96, v98
	v_mul_f16_e32 v97, v92, v99
	v_mul_f16_e32 v45, v94, v95
	;; [unrolled: 1-line block ×4, first 2 shown]
	s_waitcnt lgkmcnt(2)
	v_lshrrev_b32_e32 v99, 16, v89
	v_fma_f16 v85, v85, v66, -v97
	v_fma_f16 v87, v87, v67, -v45
	v_lshrrev_b32_e32 v45, 16, v68
	v_fmac_f16_e32 v93, v92, v66
	v_lshrrev_b32_e32 v66, 16, v88
	v_fmac_f16_e32 v95, v94, v67
	v_lshrrev_b32_e32 v67, 16, v69
	v_mul_f16_e32 v92, v88, v45
	s_waitcnt lgkmcnt(1)
	v_lshrrev_b32_e32 v94, 16, v90
	v_mul_f16_e32 v45, v66, v45
	s_waitcnt vmcnt(6)
	v_lshrrev_b32_e32 v100, 16, v70
	v_mul_f16_e32 v97, v90, v67
	v_fmac_f16_e32 v92, v66, v68
	v_mul_f16_e32 v101, v94, v67
	ds_load_2addr_b32 v[66:67], v54 offset0:40 offset1:175
	v_fma_f16 v88, v88, v68, -v45
	v_fmac_f16_e32 v97, v94, v69
	v_mul_f16_e32 v94, v99, v100
	v_lshrrev_b32_e32 v45, 16, v91
	v_lshrrev_b32_e32 v68, 16, v71
	v_fma_f16 v90, v90, v69, -v101
	s_waitcnt vmcnt(5)
	v_lshrrev_b32_e32 v69, 16, v72
	v_fma_f16 v94, v89, v70, -v94
	v_mul_f16_e32 v89, v89, v100
	v_mul_f16_e32 v100, v45, v68
	;; [unrolled: 1-line block ×3, first 2 shown]
	s_waitcnt lgkmcnt(1)
	v_lshrrev_b32_e32 v68, 16, v56
	v_lshrrev_b32_e32 v104, 16, v57
	v_fmac_f16_e32 v89, v99, v70
	v_mul_f16_e32 v99, v56, v69
	v_fma_f16 v91, v91, v71, -v100
	v_fmac_f16_e32 v101, v45, v71
	ds_load_2addr_b32 v[70:71], v47 offset0:54 offset1:189
	v_mul_f16_e32 v45, v68, v69
	v_fmac_f16_e32 v99, v68, v72
	ds_load_2addr_b32 v[68:69], v48 offset0:112 offset1:247
	v_lshrrev_b32_e32 v100, 16, v73
	s_waitcnt lgkmcnt(2)
	v_lshrrev_b32_e32 v106, 16, v67
	v_lshrrev_b32_e32 v102, 16, v66
	v_fma_f16 v108, v56, v72, -v45
	v_mul_f16_e32 v103, v66, v100
	s_delay_alu instid0(VALU_DEP_3) | instskip(NEXT) | instid1(VALU_DEP_2)
	v_mul_f16_e32 v100, v102, v100
	v_fmac_f16_e32 v103, v102, v73
	s_waitcnt vmcnt(4)
	v_lshrrev_b32_e32 v107, 16, v75
	v_lshrrev_b32_e32 v105, 16, v74
	v_fma_f16 v100, v66, v73, -v100
	s_delay_alu instid0(VALU_DEP_3) | instskip(NEXT) | instid1(VALU_DEP_3)
	v_mul_f16_e32 v45, v106, v107
	v_mul_f16_e32 v102, v104, v105
	;; [unrolled: 1-line block ×4, first 2 shown]
	s_waitcnt lgkmcnt(0)
	v_lshrrev_b32_e32 v66, 16, v68
	v_fma_f16 v109, v67, v75, -v45
	s_waitcnt vmcnt(3)
	v_lshrrev_b32_e32 v45, 16, v76
	v_lshrrev_b32_e32 v56, 16, v77
	;; [unrolled: 1-line block ×3, first 2 shown]
	v_fma_f16 v102, v57, v74, -v102
	v_fmac_f16_e32 v105, v104, v74
	v_fmac_f16_e32 v107, v106, v75
	v_mul_f16_e32 v75, v68, v45
	v_mul_f16_e32 v104, v70, v56
	;; [unrolled: 1-line block ×3, first 2 shown]
	ds_load_2addr_b32 v[56:57], v53 offset0:62 offset1:197
	v_mul_f16_e32 v45, v66, v45
	v_lshrrev_b32_e32 v73, 16, v69
	v_fmac_f16_e32 v75, v66, v76
	v_fmac_f16_e32 v104, v67, v77
	ds_load_2addr_b32 v[66:67], v17 offset0:68 offset1:203
	v_fma_f16 v76, v68, v76, -v45
	v_fma_f16 v77, v70, v77, -v72
	v_lshrrev_b32_e32 v68, 16, v71
	s_waitcnt vmcnt(1)
	v_lshrrev_b32_e32 v74, 16, v78
	v_lshrrev_b32_e32 v70, 16, v79
	s_delay_alu instid0(VALU_DEP_2) | instskip(SKIP_1) | instid1(VALU_DEP_3)
	v_mul_f16_e32 v45, v73, v74
	v_mul_f16_e32 v110, v69, v74
	;; [unrolled: 1-line block ×3, first 2 shown]
	s_delay_alu instid0(VALU_DEP_3)
	v_fma_f16 v106, v69, v78, -v45
	v_mul_f16_e32 v45, v68, v70
	v_lshrrev_b32_e32 v69, 16, v80
	v_lshrrev_b32_e32 v70, 16, v81
	v_fmac_f16_e32 v111, v68, v79
	v_fmac_f16_e32 v110, v73, v78
	v_fma_f16 v112, v71, v79, -v45
	s_waitcnt lgkmcnt(1)
	v_lshrrev_b32_e32 v45, 16, v56
	v_mul_f16_e32 v74, v56, v69
	s_waitcnt lgkmcnt(0)
	v_mul_f16_e32 v73, v66, v70
	s_delay_alu instid0(VALU_DEP_3) | instskip(NEXT) | instid1(VALU_DEP_3)
	v_mul_f16_e32 v68, v45, v69
	v_fmac_f16_e32 v74, v45, v80
	v_lshrrev_b32_e32 v45, 16, v66
	v_lshrrev_b32_e32 v69, 16, v57
	s_delay_alu instid0(VALU_DEP_4) | instskip(NEXT) | instid1(VALU_DEP_3)
	v_fma_f16 v78, v56, v80, -v68
	v_mul_f16_e32 v70, v45, v70
	v_fmac_f16_e32 v73, v45, v81
	s_waitcnt vmcnt(0)
	v_lshrrev_b32_e32 v72, 16, v82
	v_lshrrev_b32_e32 v56, 16, v83
	v_fma_f16 v79, v66, v81, -v70
	ds_load_b32 v81, v46
	v_mul_f16_e32 v45, v69, v72
	v_mul_f16_e32 v80, v57, v72
	v_lshrrev_b32_e32 v66, 16, v67
	v_mul_f16_e32 v113, v67, v56
	s_delay_alu instid0(VALU_DEP_4) | instskip(NEXT) | instid1(VALU_DEP_4)
	v_fma_f16 v71, v57, v82, -v45
	v_fmac_f16_e32 v80, v69, v82
	v_add_f16_e32 v82, v84, v86
	v_mul_f16_e32 v45, v66, v56
	v_lshl_add_u32 v57, v22, 2, 0
	v_lshl_add_u32 v56, v21, 2, 0
	v_fmac_f16_e32 v113, v66, v83
	s_delay_alu instid0(VALU_DEP_4)
	v_fma_f16 v72, v67, v83, -v45
	v_lshl_add_u32 v45, v20, 2, 0
	ds_load_b32 v70, v38
	ds_load_b32 v68, v57
	;; [unrolled: 1-line block ×6, first 2 shown]
	s_waitcnt lgkmcnt(6)
	v_lshrrev_b32_e32 v114, 16, v81
	v_add_f16_e32 v115, v81, v84
	v_fmac_f16_e32 v81, -0.5, v82
	v_sub_f16_e32 v84, v84, v86
	s_delay_alu instid0(VALU_DEP_4) | instskip(SKIP_2) | instid1(VALU_DEP_3)
	v_add_f16_e32 v82, v114, v96
	v_sub_f16_e32 v96, v96, v98
	v_fmac_f16_e32 v114, -0.5, v116
	v_add_f16_e32 v82, v82, v98
	v_add_f16_e32 v98, v115, v86
	s_delay_alu instid0(VALU_DEP_3) | instskip(SKIP_1) | instid1(VALU_DEP_3)
	v_fmamk_f16 v86, v84, 0xbaee, v114
	v_fmac_f16_e32 v114, 0x3aee, v84
	v_pack_b32_f16 v29, v98, v82
	v_fmamk_f16 v82, v96, 0x3aee, v81
	v_fmac_f16_e32 v81, 0xbaee, v96
	v_add_f16_e32 v96, v93, v95
	s_delay_alu instid0(VALU_DEP_3)
	v_pack_b32_f16 v82, v82, v86
	ds_load_b32 v86, v42
	ds_load_b32 v98, v39
	;; [unrolled: 1-line block ×3, first 2 shown]
	s_waitcnt lgkmcnt(0)
	s_barrier
	buffer_gl0_inv
	ds_store_2addr_b32 v7, v29, v82 offset1:50
	v_pack_b32_f16 v29, v81, v114
	v_add_f16_e32 v81, v85, v87
	ds_store_b32 v7, v29 offset:400
	v_add_f16_e32 v7, v88, v90
	v_lshrrev_b32_e32 v82, 16, v86
	v_add_f16_e32 v84, v86, v85
	v_fmac_f16_e32 v86, -0.5, v81
	v_sub_f16_e32 v85, v85, v87
	v_lshrrev_b32_e32 v29, 16, v115
	v_add_f16_e32 v81, v82, v93
	v_sub_f16_e32 v93, v93, v95
	v_fmac_f16_e32 v82, -0.5, v96
	v_add_f16_e32 v84, v84, v87
	s_delay_alu instid0(VALU_DEP_4) | instskip(NEXT) | instid1(VALU_DEP_4)
	v_add_f16_e32 v81, v81, v95
	v_fmamk_f16 v87, v93, 0x3aee, v86
	v_fmac_f16_e32 v86, 0xbaee, v93
	v_fmamk_f16 v93, v85, 0xbaee, v82
	v_fmac_f16_e32 v82, 0x3aee, v85
	v_pack_b32_f16 v35, v84, v81
	v_sub_f16_e32 v84, v89, v101
	s_delay_alu instid0(VALU_DEP_4) | instskip(NEXT) | instid1(VALU_DEP_4)
	v_pack_b32_f16 v81, v87, v93
	v_pack_b32_f16 v82, v86, v82
	v_add_f16_e32 v86, v99, v103
	v_add_f16_e32 v87, v98, v108
	ds_store_2addr_b32 v5, v35, v81 offset1:50
	ds_store_b32 v5, v82 offset:400
	v_add_f16_e32 v5, v115, v88
	v_fmac_f16_e32 v115, -0.5, v7
	v_add_f16_e32 v7, v92, v97
	v_add_f16_e32 v35, v29, v92
	v_sub_f16_e32 v81, v92, v97
	v_add_f16_e32 v5, v5, v90
	v_add_f16_e32 v87, v87, v100
	v_fmac_f16_e32 v29, -0.5, v7
	v_sub_f16_e32 v7, v88, v90
	v_add_f16_e32 v35, v35, v97
	v_fmamk_f16 v64, v81, 0x3aee, v115
	v_fmac_f16_e32 v115, 0xbaee, v81
	v_lshrrev_b32_e32 v81, 16, v83
	v_fmamk_f16 v82, v7, 0xbaee, v29
	v_fmac_f16_e32 v29, 0x3aee, v7
	v_pack_b32_f16 v5, v5, v35
	v_add_f16_e32 v7, v94, v91
	s_delay_alu instid0(VALU_DEP_4) | instskip(SKIP_2) | instid1(VALU_DEP_4)
	v_pack_b32_f16 v35, v64, v82
	v_add_f16_e32 v64, v81, v89
	v_add_f16_e32 v82, v83, v94
	v_fmac_f16_e32 v83, -0.5, v7
	v_add_f16_e32 v7, v89, v101
	v_pack_b32_f16 v29, v115, v29
	v_add_f16_e32 v64, v64, v101
	v_add_f16_e32 v82, v82, v91
	s_delay_alu instid0(VALU_DEP_4) | instskip(SKIP_1) | instid1(VALU_DEP_3)
	v_fmac_f16_e32 v81, -0.5, v7
	v_sub_f16_e32 v7, v94, v91
	v_pack_b32_f16 v60, v82, v64
	v_fmamk_f16 v64, v84, 0x3aee, v83
	v_lshrrev_b32_e32 v82, 16, v98
	v_fmac_f16_e32 v83, 0xbaee, v84
	v_add_f16_e32 v84, v108, v100
	v_fmamk_f16 v85, v7, 0xbaee, v81
	v_fmac_f16_e32 v81, 0x3aee, v7
	v_add_f16_e32 v7, v82, v99
	v_fmac_f16_e32 v82, -0.5, v86
	v_fmac_f16_e32 v98, -0.5, v84
	v_sub_f16_e32 v84, v99, v103
	v_sub_f16_e32 v86, v108, v100
	v_add_f16_e32 v7, v7, v103
	v_pack_b32_f16 v64, v64, v85
	v_pack_b32_f16 v81, v83, v81
	v_fmamk_f16 v88, v84, 0x3aee, v98
	v_fmamk_f16 v89, v86, 0xbaee, v82
	v_pack_b32_f16 v7, v87, v7
	v_fmac_f16_e32 v98, 0xbaee, v84
	v_fmac_f16_e32 v82, 0x3aee, v86
	v_add_f16_e32 v83, v68, v106
	v_pack_b32_f16 v33, v88, v89
	ds_store_2addr_b32 v11, v5, v35 offset1:50
	ds_store_b32 v11, v29 offset:400
	ds_store_2addr_b32 v34, v60, v64 offset1:50
	ds_store_b32 v34, v81 offset:400
	ds_store_2addr_b32 v9, v7, v33 offset1:50
	v_add_f16_e32 v5, v102, v109
	v_lshrrev_b32_e32 v7, 16, v70
	v_add_f16_e32 v11, v105, v107
	v_add_f16_e32 v29, v70, v102
	v_add_f16_e32 v35, v76, v77
	v_fmac_f16_e32 v70, -0.5, v5
	v_sub_f16_e32 v5, v105, v107
	v_add_f16_e32 v33, v7, v105
	v_fmac_f16_e32 v7, -0.5, v11
	v_sub_f16_e32 v11, v102, v109
	v_add_f16_e32 v60, v75, v104
	v_fmamk_f16 v34, v5, 0x3aee, v70
	v_fmac_f16_e32 v70, 0xbaee, v5
	v_add_f16_e32 v5, v33, v107
	v_fmamk_f16 v33, v11, 0xbaee, v7
	v_fmac_f16_e32 v7, 0x3aee, v11
	v_lshrrev_b32_e32 v11, 16, v69
	v_add_f16_e32 v64, v69, v76
	v_fmac_f16_e32 v69, -0.5, v35
	v_sub_f16_e32 v35, v75, v104
	v_add_f16_e32 v81, v110, v111
	v_add_f16_e32 v75, v11, v75
	v_fmac_f16_e32 v11, -0.5, v60
	v_sub_f16_e32 v60, v76, v77
	v_add_f16_e32 v64, v64, v77
	v_fmamk_f16 v76, v35, 0x3aee, v69
	v_fmac_f16_e32 v69, 0xbaee, v35
	v_add_f16_e32 v35, v75, v104
	v_fmamk_f16 v75, v60, 0xbaee, v11
	v_add_f16_e32 v77, v106, v112
	v_fmac_f16_e32 v11, 0x3aee, v60
	v_lshrrev_b32_e32 v60, 16, v68
	v_add_f16_e32 v86, v78, v79
	v_lshrrev_b32_e32 v87, 16, v67
	v_fmac_f16_e32 v68, -0.5, v77
	v_sub_f16_e32 v77, v110, v111
	v_add_f16_e32 v84, v60, v110
	v_fmac_f16_e32 v60, -0.5, v81
	v_sub_f16_e32 v81, v106, v112
	v_add_f16_e32 v88, v67, v78
	v_fmamk_f16 v85, v77, 0x3aee, v68
	v_fmac_f16_e32 v68, 0xbaee, v77
	v_add_f16_e32 v77, v84, v111
	v_fmamk_f16 v84, v81, 0xbaee, v60
	v_fmac_f16_e32 v60, 0x3aee, v81
	v_add_f16_e32 v81, v74, v73
	v_fmac_f16_e32 v67, -0.5, v86
	v_add_f16_e32 v86, v87, v74
	v_sub_f16_e32 v74, v74, v73
	v_sub_f16_e32 v78, v78, v79
	v_fmac_f16_e32 v87, -0.5, v81
	v_add_f16_e32 v81, v88, v79
	v_add_f16_e32 v79, v71, v72
	v_fmamk_f16 v88, v74, 0x3aee, v67
	v_fmac_f16_e32 v67, 0xbaee, v74
	v_lshrrev_b32_e32 v74, 16, v66
	v_add_f16_e32 v89, v66, v71
	v_fmac_f16_e32 v66, -0.5, v79
	v_sub_f16_e32 v79, v80, v113
	v_add_f16_e32 v29, v29, v109
	v_add_f16_e32 v90, v74, v80
	;; [unrolled: 1-line block ×3, first 2 shown]
	v_sub_f16_e32 v71, v71, v72
	v_add_f16_e32 v83, v83, v112
	v_pack_b32_f16 v3, v29, v5
	v_pack_b32_f16 v5, v34, v33
	v_fmac_f16_e32 v74, -0.5, v80
	v_add_f16_e32 v80, v89, v72
	v_pack_b32_f16 v72, v98, v82
	v_lshlrev_b32_e32 v33, 2, v65
	ds_store_b32 v9, v72 offset:400
	ds_store_2addr_b32 v1, v3, v5 offset1:50
	v_pack_b32_f16 v3, v70, v7
	v_add3_u32 v2, 0, v2, v33
	v_pack_b32_f16 v5, v64, v35
	v_pack_b32_f16 v7, v76, v75
	;; [unrolled: 1-line block ×3, first 2 shown]
	ds_store_b32 v1, v3 offset:400
	v_lshlrev_b32_e32 v1, 2, v61
	v_add_f16_e32 v73, v86, v73
	v_fmamk_f16 v86, v78, 0xbaee, v87
	ds_store_2addr_b32 v2, v5, v7 offset1:50
	ds_store_b32 v2, v9 offset:400
	v_mul_u32_u24_e32 v2, 0x258, v59
	v_lshlrev_b32_e32 v3, 2, v63
	v_fmac_f16_e32 v87, 0x3aee, v78
	v_add3_u32 v0, 0, v0, v1
	v_pack_b32_f16 v1, v83, v77
	v_pack_b32_f16 v5, v85, v84
	v_fmamk_f16 v78, v79, 0x3aee, v66
	v_fmac_f16_e32 v66, 0xbaee, v79
	v_add_f16_e32 v79, v90, v113
	v_fmamk_f16 v29, v71, 0xbaee, v74
	v_pack_b32_f16 v7, v68, v60
	v_mul_u32_u24_e32 v11, 0x258, v58
	v_lshlrev_b32_e32 v33, 2, v62
	v_add3_u32 v2, 0, v2, v3
	v_pack_b32_f16 v3, v81, v73
	v_pack_b32_f16 v9, v88, v86
	ds_store_2addr_b32 v0, v1, v5 offset1:50
	ds_store_b32 v0, v7 offset:400
	ds_store_2addr_b32 v2, v3, v9 offset1:50
	v_pack_b32_f16 v3, v67, v87
	v_add3_u32 v5, 0, v11, v33
	v_pack_b32_f16 v7, v80, v79
	v_pack_b32_f16 v9, v78, v29
	ds_store_b32 v2, v3 offset:400
	ds_store_2addr_b32 v5, v7, v9 offset1:50
	v_add_nc_u32_e32 v7, -15, v12
	v_dual_mov_b32 v1, 0 :: v_dual_lshlrev_b32 v0, 1, v12
	v_fmac_f16_e32 v74, 0x3aee, v71
	v_mul_u32_u24_e32 v9, 0xda75, v6
	s_delay_alu instid0(VALU_DEP_4)
	v_cndmask_b32_e64 v69, v7, v16, s0
	v_mul_u32_u24_e32 v7, 0xda75, v4
	v_mov_b32_e32 v34, v1
	v_lshlrev_b64 v[2:3], 2, v[0:1]
	v_pack_b32_f16 v11, v66, v74
	v_lshlrev_b32_e32 v33, 1, v69
	v_lshrrev_b32_e32 v67, 22, v7
	v_lshrrev_b32_e32 v65, 22, v9
	v_mul_u32_u24_e32 v35, 0xda75, v10
	ds_store_b32 v5, v11 offset:400
	v_lshlrev_b64 v[33:34], 2, v[33:34]
	v_mul_lo_u16 v7, 0x96, v67
	v_add_co_u32 v2, s0, s8, v2
	s_delay_alu instid0(VALU_DEP_1) | instskip(NEXT) | instid1(VALU_DEP_3)
	v_add_co_ci_u32_e64 v3, s0, s9, v3, s0
	v_sub_nc_u16 v11, v27, v7
	v_add_co_u32 v33, s0, s8, v33
	s_delay_alu instid0(VALU_DEP_1) | instskip(NEXT) | instid1(VALU_DEP_3)
	v_add_co_ci_u32_e64 v34, s0, s9, v34, s0
	v_and_b32_e32 v71, 0xffff, v11
	s_waitcnt lgkmcnt(0)
	s_barrier
	buffer_gl0_inv
	s_clause 0x1
	global_load_b64 v[4:5], v[2:3], off offset:560
	global_load_b64 v[6:7], v[33:34], off offset:560
	v_mul_lo_u16 v9, 0x96, v65
	v_lshlrev_b32_e32 v11, 3, v71
	v_lshrrev_b32_e32 v33, 22, v8
	v_lshrrev_b32_e32 v60, 22, v35
	v_mul_u32_u24_e32 v35, 0xda75, v28
	v_sub_nc_u16 v29, v26, v9
	global_load_b64 v[8:9], v11, s[8:9] offset:560
	v_mul_lo_u16 v11, 0x96, v33
	v_mul_lo_u16 v62, 0x96, v30
	v_mul_u32_u24_e32 v67, 0x708, v67
	v_and_b32_e32 v70, 0xffff, v29
	v_lshlrev_b32_e32 v71, 2, v71
	v_sub_nc_u16 v34, v25, v11
	v_cmp_lt_u32_e64 s0, 14, v12
	v_lshlrev_b32_e32 v69, 2, v69
	v_lshlrev_b32_e32 v29, 3, v70
	v_add3_u32 v67, 0, v67, v71
	v_and_b32_e32 v59, 0xffff, v34
	v_mul_lo_u16 v34, 0x96, v60
	v_mul_u32_u24_e32 v65, 0x708, v65
	global_load_b64 v[10:11], v29, s[8:9] offset:560
	v_lshlrev_b32_e32 v70, 2, v70
	v_mul_u32_u24_e32 v33, 0x708, v33
	v_sub_nc_u16 v58, v24, v34
	v_lshrrev_b32_e32 v34, 22, v35
	v_mul_u32_u24_e32 v60, 0x708, v60
	v_add3_u32 v65, 0, v65, v70
	s_delay_alu instid0(VALU_DEP_4) | instskip(NEXT) | instid1(VALU_DEP_4)
	v_and_b32_e32 v61, 0xffff, v58
	v_mul_lo_u16 v35, 0x96, v34
	s_delay_alu instid0(VALU_DEP_2) | instskip(NEXT) | instid1(VALU_DEP_2)
	v_lshlrev_b32_e32 v58, 3, v61
	v_sub_nc_u16 v35, v23, v35
	v_lshlrev_b32_e32 v61, 2, v61
	global_load_b64 v[72:73], v58, s[8:9] offset:560
	v_lshlrev_b32_e32 v29, 3, v59
	v_and_b32_e32 v58, 0xffff, v35
	v_sub_nc_u16 v35, v22, v62
	v_lshlrev_b32_e32 v59, 2, v59
	global_load_b64 v[28:29], v29, s[8:9] offset:560
	v_lshlrev_b32_e32 v62, 3, v58
	v_and_b32_e32 v35, 0xffff, v35
	v_add3_u32 v33, 0, v33, v59
	global_load_b64 v[74:75], v62, s[8:9] offset:560
	v_lshlrev_b32_e32 v62, 3, v35
	global_load_b64 v[76:77], v62, s[8:9] offset:560
	v_mul_lo_u16 v62, 0x96, v31
	s_delay_alu instid0(VALU_DEP_1) | instskip(NEXT) | instid1(VALU_DEP_1)
	v_sub_nc_u16 v62, v21, v62
	v_and_b32_e32 v62, 0xffff, v62
	s_delay_alu instid0(VALU_DEP_1)
	v_lshlrev_b32_e32 v63, 3, v62
	global_load_b64 v[78:79], v63, s[8:9] offset:560
	v_lshlrev_b32_e32 v63, 3, v32
	global_load_b64 v[80:81], v63, s[8:9] offset:560
	ds_load_2addr_b32 v[82:83], v50 offset0:12 offset1:147
	ds_load_2addr_b32 v[84:85], v55 offset0:84 offset1:219
	;; [unrolled: 1-line block ×3, first 2 shown]
	ds_load_u16 v90, v46 offset:5942
	ds_load_2addr_b32 v[88:89], v52 offset0:26 offset1:161
	ds_load_b32 v68, v38
	ds_load_b32 v64, v57
	;; [unrolled: 1-line block ×3, first 2 shown]
	s_waitcnt lgkmcnt(7)
	v_lshrrev_b32_e32 v96, 16, v82
	v_lshrrev_b32_e32 v91, 16, v83
	s_waitcnt lgkmcnt(5)
	v_lshrrev_b32_e32 v94, 16, v86
	v_lshrrev_b32_e32 v92, 16, v84
	s_waitcnt lgkmcnt(3)
	v_lshrrev_b32_e32 v102, 16, v89
	s_waitcnt vmcnt(9)
	v_lshrrev_b32_e32 v66, 16, v4
	v_lshrrev_b32_e32 v93, 16, v5
	s_waitcnt vmcnt(8)
	v_lshrrev_b32_e32 v98, 16, v6
	v_lshrrev_b32_e32 v99, 16, v7
	v_mul_f16_e32 v95, v66, v86
	v_mul_f16_e32 v97, v66, v94
	ds_load_b32 v66, v40
	s_waitcnt vmcnt(7)
	v_lshrrev_b32_e32 v100, 16, v8
	v_lshrrev_b32_e32 v101, 16, v9
	v_fmac_f16_e32 v95, v4, v94
	v_mul_f16_e32 v94, v93, v82
	v_mul_f16_e32 v93, v93, v96
	v_fma_f16 v86, v4, v86, -v97
	v_mul_f16_e32 v4, v90, v98
	v_mul_f16_e32 v103, v88, v101
	v_fmac_f16_e32 v94, v5, v96
	v_fma_f16 v82, v5, v82, -v93
	v_mul_f16_e32 v93, v98, v87
	v_fma_f16 v87, v6, v87, -v4
	v_mul_f16_e32 v4, v91, v99
	ds_load_b32 v96, v41
	ds_load_b32 v97, v46
	v_mul_f16_e32 v99, v83, v99
	v_lshrrev_b32_e32 v98, 16, v88
	v_fmac_f16_e32 v93, v90, v6
	v_fma_f16 v83, v83, v7, -v4
	ds_load_2addr_b32 v[4:5], v49 offset0:98 offset1:233
	v_fmac_f16_e32 v99, v91, v7
	v_mul_f16_e32 v91, v84, v100
	v_lshrrev_b32_e32 v90, 16, v85
	v_mul_f16_e32 v100, v92, v100
	v_mul_f16_e32 v101, v98, v101
	s_waitcnt vmcnt(6)
	v_lshrrev_b32_e32 v104, 16, v11
	v_fmac_f16_e32 v91, v92, v8
	v_lshrrev_b32_e32 v92, 16, v10
	ds_load_2addr_b32 v[6:7], v54 offset0:40 offset1:175
	v_fma_f16 v84, v84, v8, -v100
	v_fmac_f16_e32 v103, v98, v9
	v_fma_f16 v88, v88, v9, -v101
	v_mul_f16_e32 v105, v90, v92
	v_mul_f16_e32 v8, v102, v104
	s_waitcnt vmcnt(5)
	v_lshrrev_b32_e32 v106, 16, v72
	v_lshrrev_b32_e32 v108, 16, v73
	v_fma_f16 v98, v85, v10, -v105
	v_mul_f16_e32 v85, v85, v92
	s_waitcnt vmcnt(4)
	v_lshrrev_b32_e32 v9, 16, v28
	v_mul_f16_e32 v92, v89, v104
	v_fma_f16 v89, v89, v11, -v8
	s_waitcnt lgkmcnt(1)
	v_lshrrev_b32_e32 v8, 16, v4
	v_fmac_f16_e32 v85, v90, v10
	v_mul_f16_e32 v100, v4, v9
	v_fmac_f16_e32 v92, v102, v11
	ds_load_2addr_b32 v[10:11], v47 offset0:54 offset1:189
	v_mul_f16_e32 v101, v8, v9
	v_lshrrev_b32_e32 v90, 16, v29
	v_fmac_f16_e32 v100, v8, v28
	ds_load_2addr_b32 v[8:9], v48 offset0:112 offset1:247
	s_waitcnt lgkmcnt(2)
	v_lshrrev_b32_e32 v102, 16, v6
	v_lshrrev_b32_e32 v105, 16, v5
	v_lshrrev_b32_e32 v107, 16, v7
	v_mul_f16_e32 v104, v6, v90
	v_fma_f16 v28, v4, v28, -v101
	v_mul_f16_e32 v90, v102, v90
	v_mul_f16_e32 v4, v105, v106
	v_mul_f16_e32 v101, v107, v108
	v_fmac_f16_e32 v104, v102, v29
	v_mul_f16_e32 v102, v7, v108
	v_fma_f16 v29, v6, v29, -v90
	v_mul_f16_e32 v90, v5, v106
	v_fma_f16 v106, v5, v72, -v4
	v_fma_f16 v101, v7, v73, -v101
	s_waitcnt vmcnt(3)
	v_lshrrev_b32_e32 v4, 16, v74
	v_lshrrev_b32_e32 v6, 16, v75
	s_waitcnt lgkmcnt(1)
	v_lshrrev_b32_e32 v7, 16, v10
	v_fmac_f16_e32 v90, v105, v72
	v_fmac_f16_e32 v102, v107, v73
	s_waitcnt lgkmcnt(0)
	v_lshrrev_b32_e32 v5, 16, v8
	v_mul_f16_e32 v72, v8, v4
	v_lshrrev_b32_e32 v73, 16, v9
	s_waitcnt vmcnt(2)
	v_lshrrev_b32_e32 v105, 16, v76
	v_mul_f16_e32 v107, v10, v6
	v_mul_f16_e32 v4, v5, v4
	;; [unrolled: 1-line block ×3, first 2 shown]
	v_fmac_f16_e32 v72, v5, v74
	v_mul_f16_e32 v108, v73, v105
	v_fmac_f16_e32 v107, v7, v75
	v_fma_f16 v8, v8, v74, -v4
	v_fma_f16 v10, v10, v75, -v6
	ds_load_2addr_b32 v[4:5], v53 offset0:62 offset1:197
	ds_load_2addr_b32 v[6:7], v17 offset0:68 offset1:203
	v_fma_f16 v74, v9, v76, -v108
	v_mul_f16_e32 v9, v9, v105
	v_lshrrev_b32_e32 v75, 16, v11
	v_lshrrev_b32_e32 v105, 16, v77
	s_delay_alu instid0(VALU_DEP_3) | instskip(SKIP_2) | instid1(VALU_DEP_3)
	v_fmac_f16_e32 v9, v73, v76
	s_waitcnt vmcnt(1)
	v_lshrrev_b32_e32 v73, 16, v79
	v_mul_f16_e32 v108, v75, v105
	v_mul_f16_e32 v105, v11, v105
	s_delay_alu instid0(VALU_DEP_2) | instskip(SKIP_1) | instid1(VALU_DEP_3)
	v_fma_f16 v11, v11, v77, -v108
	v_lshrrev_b32_e32 v108, 16, v78
	v_fmac_f16_e32 v105, v75, v77
	s_waitcnt lgkmcnt(1)
	v_lshrrev_b32_e32 v75, 16, v4
	s_delay_alu instid0(VALU_DEP_3)
	v_mul_f16_e32 v76, v4, v108
	s_waitcnt lgkmcnt(0)
	v_lshrrev_b32_e32 v77, 16, v6
	v_mul_f16_e32 v109, v6, v73
	v_mul_f16_e32 v108, v75, v108
	v_fmac_f16_e32 v76, v75, v78
	s_delay_alu instid0(VALU_DEP_4) | instskip(NEXT) | instid1(VALU_DEP_4)
	v_mul_f16_e32 v73, v77, v73
	v_fmac_f16_e32 v109, v77, v79
	v_lshrrev_b32_e32 v75, 16, v5
	s_waitcnt vmcnt(0)
	v_lshrrev_b32_e32 v77, 16, v80
	v_fma_f16 v4, v4, v78, -v108
	v_fma_f16 v6, v6, v79, -v73
	v_lshrrev_b32_e32 v78, 16, v81
	s_delay_alu instid0(VALU_DEP_4) | instskip(NEXT) | instid1(VALU_DEP_1)
	v_mul_f16_e32 v73, v75, v77
	v_fma_f16 v73, v5, v80, -v73
	v_mul_f16_e32 v5, v5, v77
	v_lshrrev_b32_e32 v77, 16, v7
	s_delay_alu instid0(VALU_DEP_2) | instskip(NEXT) | instid1(VALU_DEP_2)
	v_fmac_f16_e32 v5, v75, v80
	v_mul_f16_e32 v79, v77, v78
	v_mul_f16_e32 v78, v7, v78
	v_add_f16_e32 v75, v86, v82
	v_add_f16_e32 v80, v95, v94
	s_delay_alu instid0(VALU_DEP_4) | instskip(NEXT) | instid1(VALU_DEP_4)
	v_fma_f16 v7, v7, v81, -v79
	v_fmac_f16_e32 v78, v77, v81
	v_lshrrev_b32_e32 v77, 16, v97
	v_add_f16_e32 v79, v97, v86
	v_fmac_f16_e32 v97, -0.5, v75
	ds_load_b32 v75, v42
	v_add_f16_e32 v81, v77, v95
	v_sub_f16_e32 v95, v95, v94
	v_fmac_f16_e32 v77, -0.5, v80
	v_sub_f16_e32 v80, v86, v82
	v_add_f16_e32 v79, v79, v82
	v_add_f16_e32 v81, v81, v94
	ds_load_b32 v94, v39
	v_fmamk_f16 v82, v95, 0x3aee, v97
	v_fmamk_f16 v86, v80, 0xbaee, v77
	v_fmac_f16_e32 v77, 0x3aee, v80
	v_pack_b32_f16 v79, v79, v81
	v_fmac_f16_e32 v97, 0xbaee, v95
	v_cndmask_b32_e64 v95, 0, 0x708, s0
	v_pack_b32_f16 v81, v82, v86
	ds_load_b32 v82, v43
	ds_load_b32 v86, v45
	s_waitcnt lgkmcnt(0)
	s_barrier
	buffer_gl0_inv
	v_lshrrev_b32_e32 v108, 16, v75
	ds_store_2addr_b32 v46, v79, v81 offset1:150
	v_add_f16_e32 v79, v87, v83
	v_add_f16_e32 v81, v75, v87
	v_pack_b32_f16 v77, v97, v77
	v_add_f16_e32 v80, v108, v93
	v_add3_u32 v69, 0, v95, v69
	v_fmac_f16_e32 v75, -0.5, v79
	v_add_f16_e32 v79, v93, v99
	v_sub_f16_e32 v93, v93, v99
	v_add_f16_e32 v80, v80, v99
	v_add_f16_e32 v81, v81, v83
	ds_store_b32 v46, v77 offset:1200
	v_fmac_f16_e32 v108, -0.5, v79
	v_sub_f16_e32 v79, v87, v83
	v_fmamk_f16 v83, v93, 0x3aee, v75
	v_pack_b32_f16 v80, v81, v80
	v_lshrrev_b32_e32 v81, 16, v82
	v_fmac_f16_e32 v75, 0xbaee, v93
	v_fmamk_f16 v87, v79, 0xbaee, v108
	v_fmac_f16_e32 v108, 0x3aee, v79
	v_add_f16_e32 v93, v96, v98
	v_add_f16_e32 v77, v81, v91
	s_delay_alu instid0(VALU_DEP_4) | instskip(SKIP_2) | instid1(VALU_DEP_4)
	v_pack_b32_f16 v79, v83, v87
	v_add_f16_e32 v83, v84, v88
	v_add_f16_e32 v87, v82, v84
	;; [unrolled: 1-line block ×3, first 2 shown]
	v_pack_b32_f16 v75, v75, v108
	s_delay_alu instid0(VALU_DEP_4) | instskip(SKIP_3) | instid1(VALU_DEP_3)
	v_fmac_f16_e32 v82, -0.5, v83
	v_add_f16_e32 v83, v91, v103
	v_add_f16_e32 v87, v87, v88
	v_sub_f16_e32 v91, v91, v103
	v_fmac_f16_e32 v81, -0.5, v83
	v_sub_f16_e32 v83, v84, v88
	s_delay_alu instid0(VALU_DEP_4) | instskip(NEXT) | instid1(VALU_DEP_4)
	v_pack_b32_f16 v71, v87, v77
	v_fmamk_f16 v77, v91, 0x3aee, v82
	v_lshrrev_b32_e32 v84, 16, v96
	v_fmac_f16_e32 v82, 0xbaee, v91
	v_add_f16_e32 v88, v98, v89
	v_add_f16_e32 v91, v85, v92
	v_fmamk_f16 v87, v83, 0xbaee, v81
	v_fmac_f16_e32 v81, 0x3aee, v83
	v_add_f16_e32 v83, v84, v85
	v_fmac_f16_e32 v96, -0.5, v88
	v_sub_f16_e32 v85, v85, v92
	v_fmac_f16_e32 v84, -0.5, v91
	v_sub_f16_e32 v88, v98, v89
	v_add_f16_e32 v83, v83, v92
	v_add_f16_e32 v89, v93, v89
	v_fmamk_f16 v91, v85, 0x3aee, v96
	v_pack_b32_f16 v77, v77, v87
	v_fmamk_f16 v92, v88, 0xbaee, v84
	v_pack_b32_f16 v81, v82, v81
	v_pack_b32_f16 v70, v89, v83
	v_fmac_f16_e32 v96, 0xbaee, v85
	v_fmac_f16_e32 v84, 0x3aee, v88
	v_pack_b32_f16 v82, v91, v92
	ds_store_2addr_b32 v69, v80, v79 offset1:150
	ds_store_b32 v69, v75 offset:1200
	ds_store_2addr_b32 v67, v71, v77 offset1:150
	ds_store_b32 v67, v81 offset:1200
	ds_store_2addr_b32 v65, v70, v82 offset1:150
	v_add_f16_e32 v67, v28, v29
	v_lshrrev_b32_e32 v69, 16, v94
	v_add_f16_e32 v70, v100, v104
	v_add_f16_e32 v71, v94, v28
	v_sub_f16_e32 v75, v100, v104
	v_fmac_f16_e32 v94, -0.5, v67
	v_add_f16_e32 v67, v69, v100
	v_fmac_f16_e32 v69, -0.5, v70
	v_add_f16_e32 v70, v71, v29
	v_pack_b32_f16 v71, v96, v84
	v_sub_f16_e32 v28, v28, v29
	v_fmamk_f16 v29, v75, 0x3aee, v94
	v_fmac_f16_e32 v94, 0xbaee, v75
	v_add_f16_e32 v75, v90, v102
	ds_store_b32 v65, v71 offset:1200
	v_add_f16_e32 v65, v106, v101
	v_fmamk_f16 v71, v28, 0xbaee, v69
	v_fmac_f16_e32 v69, 0x3aee, v28
	v_lshrrev_b32_e32 v28, 16, v68
	v_add_f16_e32 v77, v68, v106
	v_fmac_f16_e32 v68, -0.5, v65
	v_sub_f16_e32 v65, v90, v102
	v_add_f16_e32 v81, v8, v10
	v_add_f16_e32 v79, v28, v90
	v_fmac_f16_e32 v28, -0.5, v75
	v_sub_f16_e32 v75, v106, v101
	v_fmamk_f16 v80, v65, 0x3aee, v68
	v_fmac_f16_e32 v68, 0xbaee, v65
	v_add_f16_e32 v65, v79, v102
	v_add_f16_e32 v82, v72, v107
	v_fmamk_f16 v79, v75, 0xbaee, v28
	v_fmac_f16_e32 v28, 0x3aee, v75
	v_lshrrev_b32_e32 v75, 16, v66
	v_add_f16_e32 v83, v66, v8
	v_fmac_f16_e32 v66, -0.5, v81
	v_sub_f16_e32 v81, v72, v107
	v_sub_f16_e32 v8, v8, v10
	v_add_f16_e32 v72, v75, v72
	v_fmac_f16_e32 v75, -0.5, v82
	v_add_f16_e32 v10, v83, v10
	v_fmamk_f16 v82, v81, 0x3aee, v66
	v_fmac_f16_e32 v66, 0xbaee, v81
	v_add_f16_e32 v83, v74, v11
	v_fmamk_f16 v81, v8, 0xbaee, v75
	v_fmac_f16_e32 v75, 0x3aee, v8
	v_lshrrev_b32_e32 v8, 16, v64
	v_add_f16_e32 v84, v9, v105
	v_add_f16_e32 v85, v64, v74
	v_fmac_f16_e32 v64, -0.5, v83
	v_sub_f16_e32 v83, v9, v105
	v_add_f16_e32 v9, v8, v9
	v_fmac_f16_e32 v8, -0.5, v84
	v_sub_f16_e32 v74, v74, v11
	v_add_f16_e32 v11, v85, v11
	v_fmamk_f16 v84, v83, 0x3aee, v64
	v_fmac_f16_e32 v64, 0xbaee, v83
	v_add_f16_e32 v85, v4, v6
	v_fmamk_f16 v83, v74, 0xbaee, v8
	v_fmac_f16_e32 v8, 0x3aee, v74
	v_lshrrev_b32_e32 v74, 16, v63
	v_add_f16_e32 v87, v76, v109
	v_add_f16_e32 v88, v63, v4
	v_fmac_f16_e32 v63, -0.5, v85
	v_sub_f16_e32 v85, v76, v109
	v_add_f16_e32 v76, v74, v76
	v_fmac_f16_e32 v74, -0.5, v87
	v_sub_f16_e32 v4, v4, v6
	v_add_f16_e32 v6, v88, v6
	v_fmamk_f16 v87, v85, 0x3aee, v63
	v_fmac_f16_e32 v63, 0xbaee, v85
	v_add_f16_e32 v88, v73, v7
	v_fmamk_f16 v85, v4, 0xbaee, v74
	v_lshrrev_b32_e32 v89, 16, v86
	v_add_f16_e32 v90, v5, v78
	v_fmac_f16_e32 v74, 0x3aee, v4
	v_add_f16_e32 v4, v86, v73
	v_add_f16_e32 v67, v67, v104
	v_fmac_f16_e32 v86, -0.5, v88
	v_add_f16_e32 v88, v89, v5
	v_fmac_f16_e32 v89, -0.5, v90
	v_add_f16_e32 v4, v4, v7
	v_sub_f16_e32 v7, v73, v7
	v_add_f16_e32 v77, v77, v101
	v_pack_b32_f16 v59, v70, v67
	v_pack_b32_f16 v29, v29, v71
	;; [unrolled: 1-line block ×3, first 2 shown]
	v_fmamk_f16 v67, v7, 0xbaee, v89
	v_fmac_f16_e32 v89, 0x3aee, v7
	v_pack_b32_f16 v7, v94, v69
	ds_store_2addr_b32 v33, v59, v29 offset1:150
	v_add3_u32 v29, 0, v60, v61
	v_pack_b32_f16 v59, v77, v65
	v_pack_b32_f16 v60, v80, v79
	v_add_f16_e32 v72, v72, v107
	ds_store_b32 v33, v7 offset:1200
	v_mul_u32_u24_e32 v7, 0x708, v34
	v_lshlrev_b32_e32 v33, 2, v58
	v_add_f16_e32 v9, v9, v105
	ds_store_2addr_b32 v29, v59, v60 offset1:150
	ds_store_b32 v29, v28 offset:1200
	v_mul_u32_u24_e32 v28, 0x708, v30
	v_lshlrev_b32_e32 v29, 2, v35
	v_sub_f16_e32 v5, v5, v78
	v_add3_u32 v7, 0, v7, v33
	v_pack_b32_f16 v10, v10, v72
	v_pack_b32_f16 v30, v82, v81
	;; [unrolled: 1-line block ×3, first 2 shown]
	v_add3_u32 v28, 0, v28, v29
	v_pack_b32_f16 v9, v11, v9
	v_pack_b32_f16 v11, v84, v83
	v_add_f16_e32 v76, v76, v109
	v_mul_u32_u24_e32 v29, 0x708, v31
	v_lshlrev_b32_e32 v31, 2, v62
	v_fmamk_f16 v73, v5, 0x3aee, v86
	v_fmac_f16_e32 v86, 0xbaee, v5
	v_add_f16_e32 v5, v88, v78
	ds_store_2addr_b32 v7, v10, v30 offset1:150
	ds_store_b32 v7, v33 offset:1200
	ds_store_2addr_b32 v28, v9, v11 offset1:150
	v_lshl_add_u32 v9, v32, 2, 0
	v_pack_b32_f16 v7, v64, v8
	v_add3_u32 v8, 0, v29, v31
	v_pack_b32_f16 v6, v6, v76
	v_pack_b32_f16 v10, v87, v85
	;; [unrolled: 1-line block ×5, first 2 shown]
	v_add_nc_u32_e32 v29, 0x3800, v9
	v_pack_b32_f16 v30, v86, v89
	ds_store_b32 v28, v7 offset:1200
	ds_store_2addr_b32 v8, v6, v10 offset1:150
	ds_store_b32 v8, v11 offset:1200
	ds_store_2addr_b32 v29, v4, v5 offset0:16 offset1:166
	ds_store_b32 v9, v30 offset:15600
	v_dual_mov_b32 v5, v1 :: v_dual_lshlrev_b32 v4, 1, v16
	s_waitcnt lgkmcnt(0)
	s_barrier
	buffer_gl0_inv
	global_load_b64 v[8:9], v[2:3], off offset:1760
	v_lshlrev_b64 v[4:5], 2, v[4:5]
	v_subrev_nc_u32_e32 v28, 45, v12
	v_dual_mov_b32 v7, v1 :: v_dual_lshlrev_b32 v6, 1, v27
	v_dual_mov_b32 v29, v1 :: v_dual_and_b32 v34, 0xffff, v23
	s_delay_alu instid0(VALU_DEP_4) | instskip(NEXT) | instid1(VALU_DEP_1)
	v_add_co_u32 v4, s0, s8, v4
	v_add_co_ci_u32_e64 v5, s0, s9, v5, s0
	v_cmp_gt_u32_e64 s0, 45, v12
	v_lshlrev_b64 v[6:7], 2, v[6:7]
	v_mul_u32_u24_e32 v34, 0x91a3, v34
	global_load_b64 v[10:11], v[4:5], off offset:1760
	v_add_nc_u32_e32 v32, 0xb4, v0
	v_cndmask_b32_e64 v59, v28, v26, s0
	v_mov_b32_e32 v33, v1
	v_add_co_u32 v6, s0, s8, v6
	s_delay_alu instid0(VALU_DEP_1) | instskip(NEXT) | instid1(VALU_DEP_4)
	v_add_co_ci_u32_e64 v7, s0, s9, v7, s0
	v_lshlrev_b32_e32 v28, 1, v59
	v_add_nc_u32_e32 v0, 0x1c2, v0
	v_lshrrev_b32_e32 v58, 24, v34
	v_and_b32_e32 v60, 0xffff, v22
	v_lshlrev_b64 v[32:33], 2, v[32:33]
	v_lshlrev_b64 v[30:31], 2, v[28:29]
	global_load_b64 v[28:29], v[6:7], off offset:1760
	v_lshlrev_b64 v[34:35], 2, v[0:1]
	v_mul_lo_u16 v0, 0x1c2, v58
	v_mul_u32_u24_e32 v60, 0x91a3, v60
	v_and_b32_e32 v61, 0xffff, v21
	v_add_co_u32 v30, s0, s8, v30
	s_delay_alu instid0(VALU_DEP_1) | instskip(SKIP_1) | instid1(VALU_DEP_1)
	v_add_co_ci_u32_e64 v31, s0, s9, v31, s0
	v_add_co_u32 v32, s0, s8, v32
	v_add_co_ci_u32_e64 v33, s0, s9, v33, s0
	global_load_b64 v[30:31], v[30:31], off offset:1760
	v_sub_nc_u16 v0, v23, v0
	v_lshrrev_b32_e32 v60, 24, v60
	global_load_b64 v[32:33], v[32:33], off offset:1760
	v_add_co_u32 v34, s0, s8, v34
	v_and_b32_e32 v66, 0xffff, v0
	v_mul_lo_u16 v0, 0x1c2, v60
	v_add_co_ci_u32_e64 v35, s0, s9, v35, s0
	v_mul_u32_u24_e32 v60, 0x91a3, v61
	s_delay_alu instid0(VALU_DEP_4) | instskip(NEXT) | instid1(VALU_DEP_4)
	v_lshlrev_b32_e32 v61, 3, v66
	v_sub_nc_u16 v0, v22, v0
	global_load_b64 v[34:35], v[34:35], off offset:1760
	v_cmp_lt_u32_e64 s0, 44, v12
	v_lshrrev_b32_e32 v60, 24, v60
	global_load_b64 v[68:69], v61, s[8:9] offset:1760
	v_and_b32_e32 v0, 0xffff, v0
	v_mul_u32_u24_e32 v58, 0x1518, v58
	v_lshlrev_b32_e32 v66, 2, v66
	v_mul_lo_u16 v60, 0x1c2, v60
	s_delay_alu instid0(VALU_DEP_4) | instskip(SKIP_1) | instid1(VALU_DEP_4)
	v_lshlrev_b32_e32 v62, 3, v0
	v_lshl_add_u32 v0, v0, 2, 0
	v_add3_u32 v58, 0, v58, v66
	s_delay_alu instid0(VALU_DEP_4) | instskip(SKIP_3) | instid1(VALU_DEP_2)
	v_sub_nc_u16 v60, v21, v60
	global_load_b64 v[70:71], v62, s[8:9] offset:1760
	v_and_b32_e32 v61, 0xffff, v20
	v_and_b32_e32 v60, 0xffff, v60
	v_mul_u32_u24_e32 v61, 0x91a3, v61
	s_delay_alu instid0(VALU_DEP_2) | instskip(NEXT) | instid1(VALU_DEP_2)
	v_lshlrev_b32_e32 v62, 3, v60
	v_lshrrev_b32_e32 v61, 24, v61
	global_load_b64 v[72:73], v62, s[8:9] offset:1760
	v_mul_lo_u16 v61, 0x1c2, v61
	s_delay_alu instid0(VALU_DEP_1) | instskip(NEXT) | instid1(VALU_DEP_1)
	v_sub_nc_u16 v61, v20, v61
	v_and_b32_e32 v61, 0xffff, v61
	s_delay_alu instid0(VALU_DEP_1)
	v_lshlrev_b32_e32 v62, 3, v61
	global_load_b64 v[74:75], v62, s[8:9] offset:1760
	ds_load_2addr_b32 v[76:77], v51 offset0:70 offset1:205
	ds_load_2addr_b32 v[78:79], v50 offset0:12 offset1:147
	ds_load_u16 v84, v46 offset:5942
	ds_load_2addr_b32 v[80:81], v55 offset0:84 offset1:219
	ds_load_2addr_b32 v[82:83], v52 offset0:26 offset1:161
	ds_load_b32 v64, v38
	ds_load_b32 v63, v57
	;; [unrolled: 1-line block ×3, first 2 shown]
	s_waitcnt lgkmcnt(7)
	v_lshrrev_b32_e32 v85, 16, v76
	s_waitcnt lgkmcnt(6)
	v_lshrrev_b32_e32 v87, 16, v78
	v_lshrrev_b32_e32 v91, 16, v79
	s_waitcnt vmcnt(9)
	v_lshrrev_b32_e32 v65, 16, v8
	v_lshrrev_b32_e32 v67, 16, v9
	s_delay_alu instid0(VALU_DEP_2) | instskip(SKIP_1) | instid1(VALU_DEP_3)
	v_mul_f16_e32 v86, v65, v76
	v_mul_f16_e32 v88, v65, v85
	;; [unrolled: 1-line block ×3, first 2 shown]
	ds_load_b32 v65, v40
	v_fmac_f16_e32 v86, v8, v85
	v_mul_f16_e32 v85, v67, v87
	v_fma_f16 v76, v8, v76, -v88
	ds_load_b32 v67, v39
	ds_load_b32 v93, v41
	;; [unrolled: 1-line block ×3, first 2 shown]
	s_waitcnt vmcnt(8)
	v_lshrrev_b32_e32 v90, 16, v10
	v_lshrrev_b32_e32 v92, 16, v11
	v_fma_f16 v78, v9, v78, -v85
	v_fmac_f16_e32 v89, v9, v87
	s_waitcnt lgkmcnt(9)
	v_mul_f16_e32 v95, v84, v90
	v_mul_f16_e32 v8, v91, v92
	s_delay_alu instid0(VALU_DEP_2) | instskip(SKIP_1) | instid1(VALU_DEP_3)
	v_fma_f16 v85, v10, v77, -v95
	v_mul_f16_e32 v77, v90, v77
	v_fma_f16 v87, v79, v11, -v8
	v_mul_f16_e32 v79, v79, v92
	s_waitcnt vmcnt(7)
	v_lshrrev_b32_e32 v88, 16, v28
	s_waitcnt lgkmcnt(7)
	v_lshrrev_b32_e32 v92, 16, v82
	v_fmac_f16_e32 v77, v84, v10
	v_lshrrev_b32_e32 v10, 16, v29
	ds_load_2addr_b32 v[8:9], v49 offset0:98 offset1:233
	v_lshrrev_b32_e32 v90, 16, v80
	v_fmac_f16_e32 v79, v91, v11
	v_mul_f16_e32 v84, v80, v88
	v_mul_f16_e32 v95, v92, v10
	;; [unrolled: 1-line block ×3, first 2 shown]
	ds_load_2addr_b32 v[10:11], v54 offset0:40 offset1:175
	v_lshrrev_b32_e32 v91, 16, v81
	v_mul_f16_e32 v88, v90, v88
	v_fmac_f16_e32 v84, v90, v28
	s_waitcnt vmcnt(6)
	v_lshrrev_b32_e32 v90, 16, v30
	v_lshrrev_b32_e32 v97, 16, v31
	v_fma_f16 v82, v82, v29, -v95
	v_fma_f16 v80, v80, v28, -v88
	v_lshrrev_b32_e32 v88, 16, v83
	v_mul_f16_e32 v28, v91, v90
	v_mul_f16_e32 v90, v81, v90
	v_fmac_f16_e32 v96, v92, v29
	v_mul_f16_e32 v92, v83, v97
	s_waitcnt vmcnt(5)
	v_lshrrev_b32_e32 v29, 16, v32
	v_fma_f16 v81, v81, v30, -v28
	v_mul_f16_e32 v28, v88, v97
	v_fmac_f16_e32 v90, v91, v30
	s_waitcnt lgkmcnt(1)
	v_lshrrev_b32_e32 v30, 16, v8
	v_fmac_f16_e32 v92, v88, v31
	v_mul_f16_e32 v88, v8, v29
	v_fma_f16 v83, v83, v31, -v28
	v_lshrrev_b32_e32 v31, 16, v33
	v_mul_f16_e32 v91, v30, v29
	ds_load_2addr_b32 v[28:29], v48 offset0:112 offset1:247
	s_waitcnt lgkmcnt(1)
	v_lshrrev_b32_e32 v95, 16, v10
	v_fmac_f16_e32 v88, v30, v32
	v_mul_f16_e32 v97, v10, v31
	v_lshrrev_b32_e32 v98, 16, v9
	s_waitcnt vmcnt(4)
	v_lshrrev_b32_e32 v99, 16, v34
	v_mul_f16_e32 v100, v95, v31
	ds_load_2addr_b32 v[30:31], v47 offset0:54 offset1:189
	v_lshrrev_b32_e32 v101, 16, v11
	v_lshrrev_b32_e32 v102, 16, v35
	v_mul_f16_e32 v103, v98, v99
	v_fmac_f16_e32 v97, v95, v33
	v_fma_f16 v32, v8, v32, -v91
	v_fma_f16 v33, v10, v33, -v100
	v_mul_f16_e32 v8, v101, v102
	v_fma_f16 v91, v9, v34, -v103
	v_mul_f16_e32 v95, v9, v99
	v_mul_f16_e32 v99, v11, v102
	s_waitcnt vmcnt(3)
	v_lshrrev_b32_e32 v9, 16, v68
	v_fma_f16 v100, v11, v35, -v8
	s_waitcnt lgkmcnt(1)
	v_lshrrev_b32_e32 v10, 16, v28
	v_fmac_f16_e32 v95, v98, v34
	v_fmac_f16_e32 v99, v101, v35
	v_mul_f16_e32 v34, v28, v9
	v_lshrrev_b32_e32 v11, 16, v69
	v_mul_f16_e32 v35, v10, v9
	ds_load_2addr_b32 v[8:9], v53 offset0:62 offset1:197
	s_waitcnt lgkmcnt(1)
	v_lshrrev_b32_e32 v98, 16, v30
	v_fmac_f16_e32 v34, v10, v68
	v_mul_f16_e32 v101, v30, v11
	v_lshrrev_b32_e32 v102, 16, v29
	s_waitcnt vmcnt(2)
	v_lshrrev_b32_e32 v103, 16, v70
	v_mul_f16_e32 v104, v98, v11
	ds_load_2addr_b32 v[10:11], v17 offset0:68 offset1:203
	v_lshrrev_b32_e32 v105, 16, v31
	v_lshrrev_b32_e32 v106, 16, v71
	v_mul_f16_e32 v107, v102, v103
	v_fmac_f16_e32 v101, v98, v69
	v_fma_f16 v28, v28, v68, -v35
	v_fma_f16 v30, v30, v69, -v104
	v_mul_f16_e32 v35, v105, v106
	v_fma_f16 v68, v29, v70, -v107
	s_waitcnt vmcnt(1)
	v_lshrrev_b32_e32 v69, 16, v72
	v_mul_f16_e32 v29, v29, v103
	v_mul_f16_e32 v98, v31, v106
	v_fma_f16 v31, v31, v71, -v35
	s_waitcnt lgkmcnt(1)
	v_lshrrev_b32_e32 v35, 16, v8
	v_mul_f16_e32 v103, v8, v69
	v_fmac_f16_e32 v29, v102, v70
	v_lshrrev_b32_e32 v70, 16, v73
	v_fmac_f16_e32 v98, v105, v71
	v_mul_f16_e32 v69, v35, v69
	v_fmac_f16_e32 v103, v35, v72
	s_waitcnt lgkmcnt(0)
	v_lshrrev_b32_e32 v35, 16, v10
	v_mul_f16_e32 v71, v10, v70
	v_lshrrev_b32_e32 v102, 16, v9
	s_waitcnt vmcnt(0)
	v_lshrrev_b32_e32 v104, 16, v74
	v_lshrrev_b32_e32 v105, 16, v11
	;; [unrolled: 1-line block ×3, first 2 shown]
	v_mul_f16_e32 v70, v35, v70
	v_fmac_f16_e32 v71, v35, v73
	v_mul_f16_e32 v35, v102, v104
	v_fma_f16 v69, v8, v72, -v69
	v_mul_f16_e32 v8, v105, v106
	v_mul_f16_e32 v72, v9, v104
	v_fma_f16 v10, v10, v73, -v70
	v_fma_f16 v9, v9, v74, -v35
	v_mul_f16_e32 v35, v11, v106
	v_fma_f16 v11, v11, v75, -v8
	ds_load_b32 v70, v42
	v_add_f16_e32 v8, v76, v78
	v_lshrrev_b32_e32 v73, 16, v94
	v_fmac_f16_e32 v72, v102, v74
	v_fmac_f16_e32 v35, v105, v75
	v_add_f16_e32 v74, v86, v89
	v_add_f16_e32 v75, v94, v76
	v_fmac_f16_e32 v94, -0.5, v8
	v_sub_f16_e32 v8, v86, v89
	v_add_f16_e32 v86, v73, v86
	v_fmac_f16_e32 v73, -0.5, v74
	v_add_f16_e32 v74, v75, v78
	v_sub_f16_e32 v75, v76, v78
	v_fmamk_f16 v76, v8, 0x3aee, v94
	v_add_f16_e32 v78, v86, v89
	ds_load_b32 v86, v43
	v_fmac_f16_e32 v94, 0xbaee, v8
	ds_load_b32 v8, v45
	v_fmamk_f16 v89, v75, 0xbaee, v73
	v_fmac_f16_e32 v73, 0x3aee, v75
	v_add_f16_e32 v75, v85, v87
	s_waitcnt lgkmcnt(2)
	v_lshrrev_b32_e32 v102, 16, v70
	v_add_f16_e32 v104, v77, v79
	v_add_f16_e32 v105, v70, v85
	v_sub_f16_e32 v85, v85, v87
	v_fmac_f16_e32 v70, -0.5, v75
	v_sub_f16_e32 v75, v77, v79
	v_add_f16_e32 v77, v102, v77
	v_fmac_f16_e32 v102, -0.5, v104
	v_add_f16_e32 v87, v105, v87
	v_add_f16_e32 v105, v84, v96
	v_fmamk_f16 v104, v75, 0x3aee, v70
	v_fmac_f16_e32 v70, 0xbaee, v75
	v_add_f16_e32 v75, v77, v79
	v_fmamk_f16 v77, v85, 0xbaee, v102
	v_add_f16_e32 v79, v80, v82
	v_fmac_f16_e32 v102, 0x3aee, v85
	s_waitcnt lgkmcnt(1)
	v_lshrrev_b32_e32 v85, 16, v86
	v_add_f16_e32 v106, v86, v80
	v_sub_f16_e32 v80, v80, v82
	v_fmac_f16_e32 v86, -0.5, v79
	v_sub_f16_e32 v79, v84, v96
	v_add_f16_e32 v84, v85, v84
	v_fmac_f16_e32 v85, -0.5, v105
	v_add_f16_e32 v82, v106, v82
	v_add_f16_e32 v106, v90, v92
	v_fmamk_f16 v105, v79, 0x3aee, v86
	v_fmac_f16_e32 v86, 0xbaee, v79
	v_add_f16_e32 v79, v84, v96
	v_fmamk_f16 v84, v80, 0xbaee, v85
	v_add_f16_e32 v96, v81, v83
	v_fmac_f16_e32 v85, 0x3aee, v80
	v_lshrrev_b32_e32 v80, 16, v93
	v_add_f16_e32 v107, v93, v81
	v_sub_f16_e32 v81, v81, v83
	v_fmac_f16_e32 v93, -0.5, v96
	v_sub_f16_e32 v96, v90, v92
	v_add_f16_e32 v90, v80, v90
	v_fmac_f16_e32 v80, -0.5, v106
	v_add_f16_e32 v83, v107, v83
	v_add_f16_e32 v107, v88, v97
	v_fmamk_f16 v106, v96, 0x3aee, v93
	v_fmac_f16_e32 v93, 0xbaee, v96
	v_add_f16_e32 v90, v90, v92
	v_fmamk_f16 v92, v81, 0xbaee, v80
	v_add_f16_e32 v96, v32, v33
	v_fmac_f16_e32 v80, 0x3aee, v81
	v_lshrrev_b32_e32 v81, 16, v67
	v_add_f16_e32 v108, v67, v32
	v_sub_f16_e32 v32, v32, v33
	v_fmac_f16_e32 v67, -0.5, v96
	v_sub_f16_e32 v96, v88, v97
	v_add_f16_e32 v88, v81, v88
	v_fmac_f16_e32 v81, -0.5, v107
	v_add_f16_e32 v107, v108, v33
	v_add_f16_e32 v108, v64, v91
	v_fmamk_f16 v33, v96, 0x3aee, v67
	v_fmac_f16_e32 v67, 0xbaee, v96
	v_add_f16_e32 v88, v88, v97
	v_add_f16_e32 v96, v91, v100
	v_fmamk_f16 v97, v32, 0xbaee, v81
	v_fmac_f16_e32 v81, 0x3aee, v32
	v_lshrrev_b32_e32 v32, 16, v64
	v_sub_f16_e32 v91, v91, v100
	v_fmac_f16_e32 v64, -0.5, v96
	v_add_f16_e32 v96, v95, v99
	v_pack_b32_f16 v73, v94, v73
	v_add_f16_e32 v109, v32, v95
	v_sub_f16_e32 v95, v95, v99
	v_pack_b32_f16 v75, v87, v75
	v_fmac_f16_e32 v32, -0.5, v96
	v_add_f16_e32 v96, v108, v100
	v_pack_b32_f16 v70, v70, v102
	v_fmamk_f16 v100, v95, 0x3aee, v64
	v_fmac_f16_e32 v64, 0xbaee, v95
	v_add_f16_e32 v95, v109, v99
	v_add_f16_e32 v99, v28, v30
	v_fmamk_f16 v108, v91, 0xbaee, v32
	v_fmac_f16_e32 v32, 0x3aee, v91
	v_lshrrev_b32_e32 v91, 16, v65
	v_add_f16_e32 v109, v65, v28
	v_fmac_f16_e32 v65, -0.5, v99
	v_sub_f16_e32 v99, v34, v101
	v_sub_f16_e32 v28, v28, v30
	s_waitcnt lgkmcnt(0)
	s_barrier
	buffer_gl0_inv
	v_fmamk_f16 v110, v99, 0x3aee, v65
	v_fmac_f16_e32 v65, 0xbaee, v99
	v_add_f16_e32 v99, v91, v34
	v_add_f16_e32 v34, v34, v101
	v_pack_b32_f16 v33, v33, v97
	v_pack_b32_f16 v67, v67, v81
	v_pack_b32_f16 v32, v64, v32
	v_add_f16_e32 v99, v99, v101
	v_fmac_f16_e32 v91, -0.5, v34
	v_add_f16_e32 v34, v109, v30
	v_pack_b32_f16 v30, v74, v78
	v_pack_b32_f16 v74, v76, v89
	;; [unrolled: 1-line block ×3, first 2 shown]
	ds_store_b32 v46, v30
	ds_store_b32 v46, v74 offset:1800
	ds_store_b32 v46, v73 offset:3600
	v_lshlrev_b32_e32 v30, 2, v59
	v_cndmask_b32_e64 v59, 0, 0x1518, s0
	ds_store_b32 v42, v75
	ds_store_b32 v42, v76 offset:1800
	ds_store_b32 v42, v70 offset:3600
	v_pack_b32_f16 v70, v82, v79
	v_pack_b32_f16 v73, v105, v84
	;; [unrolled: 1-line block ×3, first 2 shown]
	v_add3_u32 v30, 0, v59, v30
	v_pack_b32_f16 v59, v83, v90
	v_pack_b32_f16 v75, v106, v92
	;; [unrolled: 1-line block ×3, first 2 shown]
	ds_store_b32 v43, v70
	ds_store_b32 v43, v73 offset:1800
	ds_store_b32 v43, v74 offset:3600
	ds_store_b32 v30, v59
	ds_store_b32 v30, v75 offset:1800
	ds_store_b32 v30, v76 offset:3600
	v_add_f16_e32 v30, v68, v31
	v_fmamk_f16 v59, v28, 0xbaee, v91
	v_fmac_f16_e32 v91, 0x3aee, v28
	v_lshrrev_b32_e32 v28, 16, v63
	v_add_f16_e32 v70, v29, v98
	v_add_f16_e32 v73, v63, v68
	v_fmac_f16_e32 v63, -0.5, v30
	v_sub_f16_e32 v30, v29, v98
	v_add_f16_e32 v29, v28, v29
	v_fmac_f16_e32 v28, -0.5, v70
	v_sub_f16_e32 v68, v68, v31
	v_add_f16_e32 v31, v73, v31
	v_fmamk_f16 v70, v30, 0x3aee, v63
	v_fmac_f16_e32 v63, 0xbaee, v30
	v_add_f16_e32 v73, v69, v10
	v_fmamk_f16 v30, v68, 0xbaee, v28
	v_fmac_f16_e32 v28, 0x3aee, v68
	v_lshrrev_b32_e32 v68, 16, v62
	v_add_f16_e32 v74, v103, v71
	v_add_f16_e32 v75, v62, v69
	v_fmac_f16_e32 v62, -0.5, v73
	v_sub_f16_e32 v73, v103, v71
	v_add_f16_e32 v76, v68, v103
	v_fmac_f16_e32 v68, -0.5, v74
	v_sub_f16_e32 v69, v69, v10
	v_add_f16_e32 v10, v75, v10
	v_fmamk_f16 v74, v73, 0x3aee, v62
	v_fmac_f16_e32 v62, 0xbaee, v73
	v_add_f16_e32 v71, v76, v71
	v_fmamk_f16 v73, v69, 0xbaee, v68
	v_add_f16_e32 v75, v9, v11
	v_fmac_f16_e32 v68, 0x3aee, v69
	v_lshrrev_b32_e32 v69, 16, v8
	v_add_f16_e32 v76, v72, v35
	v_add_f16_e32 v77, v8, v9
	v_fmac_f16_e32 v8, -0.5, v75
	v_sub_f16_e32 v75, v72, v35
	v_add_f16_e32 v72, v69, v72
	v_fmac_f16_e32 v69, -0.5, v76
	v_sub_f16_e32 v9, v9, v11
	v_add_f16_e32 v29, v29, v98
	v_fmamk_f16 v76, v75, 0x3aee, v8
	v_fmac_f16_e32 v8, 0xbaee, v75
	v_add_f16_e32 v35, v72, v35
	v_fmamk_f16 v72, v9, 0xbaee, v69
	v_fmac_f16_e32 v69, 0x3aee, v9
	v_pack_b32_f16 v9, v107, v88
	v_pack_b32_f16 v75, v96, v95
	;; [unrolled: 1-line block ×5, first 2 shown]
	v_add_f16_e32 v11, v77, v11
	ds_store_2addr_b32 v44, v9, v75 offset0:32 offset1:167
	v_pack_b32_f16 v9, v100, v108
	v_add_nc_u32_e32 v44, 0x2400, v46
	ds_store_2addr_b32 v49, v33, v9 offset0:98 offset1:233
	ds_store_2addr_b32 v44, v67, v32 offset0:36 offset1:171
	ds_store_b32 v58, v34
	ds_store_b32 v58, v59 offset:1800
	ds_store_b32 v58, v64 offset:3600
	v_pack_b32_f16 v9, v31, v29
	v_pack_b32_f16 v29, v70, v30
	;; [unrolled: 1-line block ×3, first 2 shown]
	v_lshl_add_u32 v30, v60, 2, 0
	v_pack_b32_f16 v10, v10, v71
	v_add_co_u32 v2, s0, 0x1000, v2
	v_pack_b32_f16 v31, v74, v73
	v_pack_b32_f16 v32, v62, v68
	v_lshl_add_u32 v33, v61, 2, 0
	v_pack_b32_f16 v11, v11, v35
	v_pack_b32_f16 v34, v76, v72
	ds_store_b32 v0, v9 offset:10800
	ds_store_b32 v0, v29 offset:12600
	;; [unrolled: 1-line block ×8, first 2 shown]
	v_pack_b32_f16 v0, v8, v69
	v_add_co_ci_u32_e64 v3, s0, 0, v3, s0
	ds_store_b32 v33, v0 offset:14400
	s_waitcnt lgkmcnt(0)
	s_barrier
	buffer_gl0_inv
	global_load_b64 v[8:9], v[2:3], off offset:1264
	v_add_co_u32 v2, s0, 0x1000, v4
	s_delay_alu instid0(VALU_DEP_1)
	v_add_co_ci_u32_e64 v3, s0, 0, v5, s0
	v_lshlrev_b32_e32 v0, 1, v26
	v_add_co_u32 v4, s0, 0x1000, v6
	global_load_b64 v[10:11], v[2:3], off offset:1264
	v_add_co_ci_u32_e64 v5, s0, 0, v7, s0
	v_lshlrev_b64 v[2:3], 2, v[0:1]
	v_lshlrev_b32_e32 v0, 1, v25
	s_delay_alu instid0(VALU_DEP_2) | instskip(NEXT) | instid1(VALU_DEP_1)
	v_add_co_u32 v2, s0, s8, v2
	v_add_co_ci_u32_e64 v3, s0, s9, v3, s0
	s_delay_alu instid0(VALU_DEP_3) | instskip(NEXT) | instid1(VALU_DEP_3)
	v_lshlrev_b64 v[6:7], 2, v[0:1]
	v_add_co_u32 v2, s0, 0x1000, v2
	s_delay_alu instid0(VALU_DEP_1)
	v_add_co_ci_u32_e64 v3, s0, 0, v3, s0
	v_lshlrev_b32_e32 v0, 1, v24
	s_clause 0x1
	global_load_b64 v[28:29], v[4:5], off offset:1264
	global_load_b64 v[30:31], v[2:3], off offset:1264
	v_add_co_u32 v4, s0, s8, v6
	s_delay_alu instid0(VALU_DEP_1) | instskip(SKIP_1) | instid1(VALU_DEP_3)
	v_add_co_ci_u32_e64 v5, s0, s9, v7, s0
	v_lshlrev_b64 v[2:3], 2, v[0:1]
	v_add_co_u32 v4, s0, 0x1000, v4
	s_delay_alu instid0(VALU_DEP_1) | instskip(SKIP_1) | instid1(VALU_DEP_4)
	v_add_co_ci_u32_e64 v5, s0, 0, v5, s0
	v_lshlrev_b32_e32 v0, 1, v23
	v_add_co_u32 v2, s0, s8, v2
	s_delay_alu instid0(VALU_DEP_1) | instskip(SKIP_2) | instid1(VALU_DEP_1)
	v_add_co_ci_u32_e64 v3, s0, s9, v3, s0
	global_load_b64 v[32:33], v[4:5], off offset:1264
	v_add_co_u32 v2, s0, 0x1000, v2
	v_add_co_ci_u32_e64 v3, s0, 0, v3, s0
	global_load_b64 v[34:35], v[2:3], off offset:1264
	v_lshlrev_b64 v[4:5], 2, v[0:1]
	v_lshlrev_b32_e32 v0, 1, v22
	s_delay_alu instid0(VALU_DEP_2) | instskip(NEXT) | instid1(VALU_DEP_1)
	v_add_co_u32 v2, s0, s8, v4
	v_add_co_ci_u32_e64 v3, s0, s9, v5, s0
	s_delay_alu instid0(VALU_DEP_3) | instskip(NEXT) | instid1(VALU_DEP_3)
	v_lshlrev_b64 v[4:5], 2, v[0:1]
	v_add_co_u32 v2, s0, 0x1000, v2
	s_delay_alu instid0(VALU_DEP_1) | instskip(SKIP_3) | instid1(VALU_DEP_1)
	v_add_co_ci_u32_e64 v3, s0, 0, v3, s0
	v_lshlrev_b32_e32 v0, 1, v21
	global_load_b64 v[58:59], v[2:3], off offset:1264
	v_add_co_u32 v2, s0, s8, v4
	v_add_co_ci_u32_e64 v3, s0, s9, v5, s0
	v_lshlrev_b64 v[4:5], 2, v[0:1]
	s_delay_alu instid0(VALU_DEP_3) | instskip(NEXT) | instid1(VALU_DEP_1)
	v_add_co_u32 v2, s0, 0x1000, v2
	v_add_co_ci_u32_e64 v3, s0, 0, v3, s0
	v_lshlrev_b32_e32 v0, 1, v20
	s_delay_alu instid0(VALU_DEP_4) | instskip(NEXT) | instid1(VALU_DEP_1)
	v_add_co_u32 v4, s0, s8, v4
	v_add_co_ci_u32_e64 v5, s0, s9, v5, s0
	global_load_b64 v[60:61], v[2:3], off offset:1264
	v_add_co_u32 v4, s0, 0x1000, v4
	s_delay_alu instid0(VALU_DEP_1) | instskip(SKIP_2) | instid1(VALU_DEP_1)
	v_add_co_ci_u32_e64 v5, s0, 0, v5, s0
	global_load_b64 v[62:63], v[4:5], off offset:1264
	v_lshlrev_b64 v[2:3], 2, v[0:1]
	v_add_co_u32 v0, s0, s8, v2
	s_delay_alu instid0(VALU_DEP_1) | instskip(NEXT) | instid1(VALU_DEP_2)
	v_add_co_ci_u32_e64 v3, s0, s9, v3, s0
	v_add_co_u32 v2, s0, 0x1000, v0
	s_delay_alu instid0(VALU_DEP_1)
	v_add_co_ci_u32_e64 v3, s0, 0, v3, s0
	global_load_b64 v[64:65], v[2:3], off offset:1264
	ds_load_2addr_b32 v[66:67], v50 offset0:12 offset1:147
	ds_load_2addr_b32 v[68:69], v55 offset0:84 offset1:219
	;; [unrolled: 1-line block ×4, first 2 shown]
	ds_load_b32 v7, v46
	ds_load_u16 v44, v46 offset:5942
	ds_load_2addr_b32 v[72:73], v49 offset0:98 offset1:233
	ds_load_2addr_b32 v[54:55], v54 offset0:40 offset1:175
	ds_load_b32 v3, v38
	ds_load_b32 v2, v57
	;; [unrolled: 1-line block ×6, first 2 shown]
	s_waitcnt lgkmcnt(13)
	v_lshrrev_b32_e32 v52, 16, v67
	s_waitcnt lgkmcnt(12)
	v_lshrrev_b32_e32 v74, 16, v68
	;; [unrolled: 2-line block ×4, first 2 shown]
	v_lshrrev_b32_e32 v76, 16, v69
	v_lshrrev_b32_e32 v77, 16, v71
	;; [unrolled: 1-line block ×3, first 2 shown]
	s_waitcnt vmcnt(9)
	v_lshrrev_b32_e32 v49, 16, v8
	v_lshrrev_b32_e32 v79, 16, v9
	s_delay_alu instid0(VALU_DEP_2) | instskip(SKIP_1) | instid1(VALU_DEP_3)
	v_mul_f16_e32 v81, v49, v78
	v_mul_f16_e32 v49, v49, v50
	v_mul_f16_e32 v82, v79, v80
	s_waitcnt vmcnt(8)
	v_lshrrev_b32_e32 v83, 16, v10
	v_mul_f16_e32 v79, v79, v66
	v_fma_f16 v50, v8, v50, -v81
	v_fmac_f16_e32 v49, v8, v78
	v_lshrrev_b32_e32 v78, 16, v11
	s_waitcnt lgkmcnt(8)
	v_mul_f16_e32 v8, v44, v83
	v_mul_f16_e32 v81, v83, v51
	v_fma_f16 v66, v9, v66, -v82
	v_fmac_f16_e32 v79, v9, v80
	v_mul_f16_e32 v83, v52, v78
	v_fma_f16 v51, v10, v51, -v8
	v_fmac_f16_e32 v81, v44, v10
	v_mul_f16_e32 v44, v67, v78
	s_waitcnt lgkmcnt(6)
	v_lshrrev_b32_e32 v82, 16, v54
	v_fma_f16 v67, v67, v11, -v83
	ds_load_2addr_b32 v[8:9], v48 offset0:112 offset1:247
	v_lshrrev_b32_e32 v80, 16, v72
	v_fmac_f16_e32 v44, v52, v11
	ds_load_2addr_b32 v[47:48], v47 offset0:54 offset1:189
	s_waitcnt vmcnt(7)
	v_lshrrev_b32_e32 v10, 16, v28
	v_lshrrev_b32_e32 v78, 16, v29
	s_waitcnt vmcnt(6)
	v_lshrrev_b32_e32 v83, 16, v30
	s_delay_alu instid0(VALU_DEP_3) | instskip(SKIP_3) | instid1(VALU_DEP_4)
	v_mul_f16_e32 v11, v74, v10
	v_mul_f16_e32 v52, v68, v10
	v_mul_f16_e32 v10, v75, v78
	v_mul_f16_e32 v78, v70, v78
	v_fma_f16 v68, v68, v28, -v11
	v_lshrrev_b32_e32 v11, 16, v31
	s_delay_alu instid0(VALU_DEP_4)
	v_fma_f16 v70, v70, v29, -v10
	v_mul_f16_e32 v10, v76, v83
	v_fmac_f16_e32 v52, v74, v28
	v_mul_f16_e32 v74, v69, v83
	v_fmac_f16_e32 v78, v75, v29
	v_lshrrev_b32_e32 v75, 16, v73
	v_fma_f16 v69, v69, v30, -v10
	v_mul_f16_e32 v10, v77, v11
	v_fmac_f16_e32 v74, v76, v30
	v_mul_f16_e32 v30, v71, v11
	s_waitcnt vmcnt(5)
	v_lshrrev_b32_e32 v11, 16, v32
	v_lshrrev_b32_e32 v83, 16, v55
	v_fma_f16 v71, v71, v31, -v10
	v_lshrrev_b32_e32 v10, 16, v33
	v_fmac_f16_e32 v30, v77, v31
	v_mul_f16_e32 v31, v72, v11
	s_waitcnt vmcnt(4)
	v_lshrrev_b32_e32 v28, 16, v34
	v_lshrrev_b32_e32 v29, 16, v35
	v_mul_f16_e32 v84, v54, v10
	v_mul_f16_e32 v10, v82, v10
	;; [unrolled: 1-line block ×3, first 2 shown]
	v_fmac_f16_e32 v31, v80, v32
	v_mul_f16_e32 v80, v75, v28
	v_fmac_f16_e32 v84, v82, v33
	v_fma_f16 v33, v54, v33, -v10
	v_mul_f16_e32 v54, v83, v29
	v_fma_f16 v32, v72, v32, -v11
	v_fma_f16 v80, v73, v34, -v80
	v_mul_f16_e32 v73, v73, v28
	ds_load_2addr_b32 v[10:11], v53 offset0:62 offset1:197
	v_fma_f16 v53, v55, v35, -v54
	v_mul_f16_e32 v54, v55, v29
	s_waitcnt vmcnt(3)
	v_lshrrev_b32_e32 v55, 16, v58
	s_waitcnt lgkmcnt(2)
	v_lshrrev_b32_e32 v76, 16, v8
	ds_load_2addr_b32 v[28:29], v17 offset0:68 offset1:203
	v_lshrrev_b32_e32 v17, 16, v59
	v_fmac_f16_e32 v73, v75, v34
	v_mul_f16_e32 v34, v8, v55
	s_waitcnt lgkmcnt(2)
	v_lshrrev_b32_e32 v77, 16, v47
	v_lshrrev_b32_e32 v72, 16, v9
	v_fmac_f16_e32 v54, v83, v35
	v_lshrrev_b32_e32 v35, 16, v48
	v_mul_f16_e32 v75, v47, v17
	v_mul_f16_e32 v55, v76, v55
	v_fmac_f16_e32 v34, v76, v58
	v_mul_f16_e32 v17, v77, v17
	s_waitcnt vmcnt(2)
	v_lshrrev_b32_e32 v82, 16, v60
	v_lshrrev_b32_e32 v76, 16, v61
	v_fmac_f16_e32 v75, v77, v59
	v_fma_f16 v8, v8, v58, -v55
	v_fma_f16 v17, v47, v59, -v17
	v_mul_f16_e32 v77, v72, v82
	v_mul_f16_e32 v55, v35, v76
	s_waitcnt lgkmcnt(1)
	v_lshrrev_b32_e32 v47, 16, v10
	s_waitcnt lgkmcnt(0)
	v_lshrrev_b32_e32 v59, 16, v28
	v_add_f16_e32 v87, v4, v8
	v_fma_f16 v58, v9, v60, -v77
	v_mul_f16_e32 v9, v9, v82
	v_fma_f16 v55, v48, v61, -v55
	v_mul_f16_e32 v48, v48, v76
	s_waitcnt vmcnt(1)
	v_lshrrev_b32_e32 v76, 16, v62
	v_lshrrev_b32_e32 v77, 16, v11
	v_fmac_f16_e32 v9, v72, v60
	v_lshrrev_b32_e32 v60, 16, v63
	v_fmac_f16_e32 v48, v35, v61
	v_mul_f16_e32 v35, v10, v76
	v_lshrrev_b32_e32 v82, 16, v29
	v_mul_f16_e32 v61, v47, v76
	v_mul_f16_e32 v85, v59, v60
	;; [unrolled: 1-line block ×3, first 2 shown]
	v_fmac_f16_e32 v35, v47, v62
	ds_load_b32 v72, v43
	ds_load_b32 v83, v42
	v_fma_f16 v10, v10, v62, -v61
	s_waitcnt vmcnt(0)
	v_lshrrev_b32_e32 v76, 16, v64
	v_lshrrev_b32_e32 v47, 16, v65
	v_fmac_f16_e32 v60, v59, v63
	v_lshrrev_b32_e32 v62, 16, v7
	v_fma_f16 v28, v28, v63, -v85
	v_mul_f16_e32 v86, v77, v76
	v_mul_f16_e32 v59, v82, v47
	v_add_f16_e32 v85, v5, v32
	ds_load_b32 v63, v45
	v_add_f16_e32 v88, v2, v58
	v_fma_f16 v61, v11, v64, -v86
	v_mul_f16_e32 v11, v11, v76
	v_fma_f16 v59, v29, v65, -v59
	v_mul_f16_e32 v29, v29, v47
	v_add_f16_e32 v86, v3, v80
	v_add_f16_e32 v89, v0, v10
	v_fmac_f16_e32 v11, v77, v64
	v_add_f16_e32 v64, v50, v66
	v_fmac_f16_e32 v29, v82, v65
	v_add_f16_e32 v82, v49, v79
	v_add_f16_e32 v65, v7, v50
	v_sub_f16_e32 v50, v50, v66
	v_fmac_f16_e32 v7, -0.5, v64
	v_sub_f16_e32 v64, v49, v79
	v_add_f16_e32 v49, v62, v49
	v_fmac_f16_e32 v62, -0.5, v82
	s_waitcnt lgkmcnt(1)
	v_lshrrev_b32_e32 v47, 16, v83
	v_add_f16_e32 v65, v65, v66
	v_fmamk_f16 v66, v64, 0x3aee, v7
	v_fmac_f16_e32 v7, 0xbaee, v64
	v_add_f16_e32 v49, v49, v79
	v_add_f16_e32 v64, v51, v67
	v_fmamk_f16 v79, v50, 0xbaee, v62
	v_fmac_f16_e32 v62, 0x3aee, v50
	v_add_f16_e32 v50, v81, v44
	v_add_f16_e32 v82, v83, v51
	v_fmac_f16_e32 v83, -0.5, v64
	v_sub_f16_e32 v64, v81, v44
	v_add_f16_e32 v81, v47, v81
	v_fmac_f16_e32 v47, -0.5, v50
	v_sub_f16_e32 v50, v51, v67
	v_lshrrev_b32_e32 v76, 16, v72
	v_add_f16_e32 v82, v82, v67
	v_fmamk_f16 v51, v64, 0x3aee, v83
	v_fmac_f16_e32 v83, 0xbaee, v64
	v_add_f16_e32 v64, v68, v70
	v_fmamk_f16 v67, v50, 0xbaee, v47
	v_fmac_f16_e32 v47, 0x3aee, v50
	v_add_f16_e32 v50, v52, v78
	v_add_f16_e32 v44, v81, v44
	;; [unrolled: 1-line block ×3, first 2 shown]
	v_fmac_f16_e32 v72, -0.5, v64
	v_sub_f16_e32 v64, v52, v78
	v_add_f16_e32 v52, v76, v52
	v_fmac_f16_e32 v76, -0.5, v50
	v_sub_f16_e32 v50, v68, v70
	v_lshrrev_b32_e32 v77, 16, v6
	v_add_f16_e32 v81, v81, v70
	v_fmamk_f16 v68, v64, 0x3aee, v72
	v_fmac_f16_e32 v72, 0xbaee, v64
	v_add_f16_e32 v64, v69, v71
	v_fmamk_f16 v70, v50, 0xbaee, v76
	v_fmac_f16_e32 v76, 0x3aee, v50
	v_add_f16_e32 v50, v74, v30
	v_add_f16_e32 v52, v52, v78
	;; [unrolled: 1-line block ×3, first 2 shown]
	v_fmac_f16_e32 v6, -0.5, v64
	v_sub_f16_e32 v64, v74, v30
	v_add_f16_e32 v74, v77, v74
	v_fmac_f16_e32 v77, -0.5, v50
	v_sub_f16_e32 v69, v69, v71
	v_lshrrev_b32_e32 v50, 16, v5
	v_add_f16_e32 v78, v78, v71
	v_fmamk_f16 v71, v64, 0x3aee, v6
	v_fmac_f16_e32 v6, 0xbaee, v64
	v_add_f16_e32 v64, v32, v33
	v_add_f16_e32 v30, v74, v30
	v_fmamk_f16 v74, v69, 0xbaee, v77
	v_fmac_f16_e32 v77, 0x3aee, v69
	v_add_f16_e32 v69, v31, v84
	v_fmac_f16_e32 v5, -0.5, v64
	v_sub_f16_e32 v64, v31, v84
	v_add_f16_e32 v31, v50, v31
	v_sub_f16_e32 v32, v32, v33
	v_fmac_f16_e32 v50, -0.5, v69
	v_add_f16_e32 v69, v85, v33
	v_fmamk_f16 v33, v64, 0x3aee, v5
	v_fmac_f16_e32 v5, 0xbaee, v64
	v_add_f16_e32 v31, v31, v84
	v_add_f16_e32 v64, v80, v53
	v_fmamk_f16 v84, v32, 0xbaee, v50
	v_fmac_f16_e32 v50, 0x3aee, v32
	v_lshrrev_b32_e32 v32, 16, v3
	v_add_f16_e32 v85, v73, v54
	v_fmac_f16_e32 v3, -0.5, v64
	v_sub_f16_e32 v64, v73, v54
	v_sub_f16_e32 v80, v80, v53
	v_add_f16_e32 v73, v32, v73
	v_fmac_f16_e32 v32, -0.5, v85
	v_add_f16_e32 v53, v86, v53
	v_fmamk_f16 v85, v64, 0x3aee, v3
	v_fmac_f16_e32 v3, 0xbaee, v64
	v_add_f16_e32 v54, v73, v54
	v_fmamk_f16 v64, v80, 0xbaee, v32
	v_add_f16_e32 v73, v8, v17
	v_fmac_f16_e32 v32, 0x3aee, v80
	v_lshrrev_b32_e32 v80, 16, v4
	v_add_f16_e32 v86, v34, v75
	v_sub_f16_e32 v8, v8, v17
	v_fmac_f16_e32 v4, -0.5, v73
	v_sub_f16_e32 v73, v34, v75
	v_add_f16_e32 v34, v80, v34
	v_fmac_f16_e32 v80, -0.5, v86
	v_add_f16_e32 v17, v87, v17
	v_add_f16_e32 v87, v9, v48
	v_fmamk_f16 v86, v73, 0x3aee, v4
	v_fmac_f16_e32 v4, 0xbaee, v73
	v_add_f16_e32 v34, v34, v75
	v_fmamk_f16 v73, v8, 0xbaee, v80
	v_add_f16_e32 v75, v58, v55
	v_fmac_f16_e32 v80, 0x3aee, v8
	v_lshrrev_b32_e32 v8, 16, v2
	v_sub_f16_e32 v58, v58, v55
	v_add_f16_e32 v55, v88, v55
	v_fmac_f16_e32 v2, -0.5, v75
	v_sub_f16_e32 v75, v9, v48
	v_add_f16_e32 v9, v8, v9
	v_fmac_f16_e32 v8, -0.5, v87
	v_add_f16_e32 v88, v35, v60
	s_waitcnt lgkmcnt(0)
	v_add_f16_e32 v90, v63, v61
	v_fmamk_f16 v87, v75, 0x3aee, v2
	v_fmac_f16_e32 v2, 0xbaee, v75
	v_add_f16_e32 v9, v9, v48
	v_fmamk_f16 v48, v58, 0xbaee, v8
	v_add_f16_e32 v75, v10, v28
	v_fmac_f16_e32 v8, 0x3aee, v58
	v_lshrrev_b32_e32 v58, 16, v0
	v_sub_f16_e32 v10, v10, v28
	v_add_f16_e32 v28, v89, v28
	v_fmac_f16_e32 v0, -0.5, v75
	v_sub_f16_e32 v75, v35, v60
	v_add_f16_e32 v35, v58, v35
	v_fmac_f16_e32 v58, -0.5, v88
	v_add_f16_e32 v89, v11, v29
	v_pack_b32_f16 v49, v65, v49
	v_fmamk_f16 v88, v75, 0x3aee, v0
	v_fmac_f16_e32 v0, 0xbaee, v75
	v_add_f16_e32 v35, v35, v60
	v_fmamk_f16 v60, v10, 0xbaee, v58
	v_add_f16_e32 v75, v61, v59
	v_fmac_f16_e32 v58, 0x3aee, v10
	v_lshrrev_b32_e32 v10, 16, v63
	v_sub_f16_e32 v61, v61, v59
	v_pack_b32_f16 v7, v7, v62
	v_fmac_f16_e32 v63, -0.5, v75
	v_sub_f16_e32 v75, v11, v29
	v_add_f16_e32 v11, v10, v11
	v_fmac_f16_e32 v10, -0.5, v89
	v_pack_b32_f16 v44, v82, v44
	v_pack_b32_f16 v51, v51, v67
	s_delay_alu instid0(VALU_DEP_4) | instskip(NEXT) | instid1(VALU_DEP_4)
	v_add_f16_e32 v11, v11, v29
	v_fmamk_f16 v29, v61, 0xbaee, v10
	v_fmac_f16_e32 v10, 0x3aee, v61
	v_pack_b32_f16 v61, v66, v79
	s_barrier
	buffer_gl0_inv
	v_pack_b32_f16 v47, v83, v47
	ds_store_b32 v46, v49
	ds_store_b32 v46, v61 offset:5400
	ds_store_b32 v46, v7 offset:10800
	ds_store_b32 v42, v44
	ds_store_b32 v42, v51 offset:5400
	ds_store_b32 v42, v47 offset:10800
	v_pack_b32_f16 v7, v81, v52
	v_pack_b32_f16 v42, v68, v70
	;; [unrolled: 1-line block ×6, first 2 shown]
	ds_store_b32 v43, v7
	ds_store_b32 v43, v42 offset:5400
	ds_store_b32 v43, v44 offset:10800
	ds_store_b32 v41, v30
	ds_store_b32 v41, v47 offset:5400
	ds_store_b32 v41, v6 offset:10800
	v_pack_b32_f16 v6, v69, v31
	v_pack_b32_f16 v7, v33, v84
	v_pack_b32_f16 v5, v5, v50
	v_pack_b32_f16 v30, v53, v54
	v_pack_b32_f16 v31, v85, v64
	v_pack_b32_f16 v3, v3, v32
	ds_store_b32 v39, v6
	ds_store_b32 v39, v7 offset:5400
	ds_store_b32 v39, v5 offset:10800
	ds_store_b32 v38, v30
	ds_store_b32 v38, v31 offset:5400
	ds_store_b32 v38, v3 offset:10800
	v_pack_b32_f16 v3, v17, v34
	v_pack_b32_f16 v5, v86, v73
	;; [unrolled: 1-line block ×3, first 2 shown]
	v_add_f16_e32 v59, v90, v59
	v_pack_b32_f16 v6, v55, v9
	v_fmamk_f16 v89, v75, 0x3aee, v63
	v_fmac_f16_e32 v63, 0xbaee, v75
	v_pack_b32_f16 v7, v87, v48
	v_pack_b32_f16 v2, v2, v8
	ds_store_b32 v40, v3
	ds_store_b32 v40, v5 offset:5400
	ds_store_b32 v40, v4 offset:10800
	ds_store_b32 v57, v6
	ds_store_b32 v57, v7 offset:5400
	ds_store_b32 v57, v2 offset:10800
	v_pack_b32_f16 v2, v28, v35
	v_pack_b32_f16 v3, v88, v60
	;; [unrolled: 1-line block ×6, first 2 shown]
	ds_store_b32 v56, v2
	ds_store_b32 v56, v3 offset:5400
	ds_store_b32 v56, v0 offset:10800
	ds_store_b32 v45, v4
	ds_store_b32 v45, v5 offset:5400
	ds_store_b32 v45, v6 offset:10800
	s_waitcnt lgkmcnt(0)
	s_barrier
	buffer_gl0_inv
	ds_load_b32 v6, v46
	v_sub_nc_u32_e32 v0, 0, v13
                                        ; implicit-def: $vgpr4
                                        ; implicit-def: $vgpr3
                                        ; implicit-def: $vgpr2
	s_waitcnt lgkmcnt(0)
	v_lshrrev_b32_e32 v7, 16, v6
	v_cmpx_ne_u32_e32 0, v12
	s_xor_b32 s5, exec_lo, s5
	s_cbranch_execz .LBB0_15
; %bb.14:
	v_mov_b32_e32 v13, v1
	s_delay_alu instid0(VALU_DEP_1) | instskip(NEXT) | instid1(VALU_DEP_1)
	v_lshlrev_b64 v[1:2], 2, v[12:13]
	v_add_co_u32 v1, s0, s1, v1
	s_delay_alu instid0(VALU_DEP_1)
	v_add_co_ci_u32_e64 v2, s0, s4, v2, s0
	global_load_b32 v1, v[1:2], off
	ds_load_b32 v2, v0 offset:16200
	s_waitcnt lgkmcnt(0)
	v_lshrrev_b32_e32 v3, 16, v2
	v_sub_f16_e32 v4, v6, v2
	v_add_f16_e32 v2, v2, v6
	s_delay_alu instid0(VALU_DEP_3) | instskip(SKIP_1) | instid1(VALU_DEP_4)
	v_add_f16_e32 v5, v3, v7
	v_sub_f16_e32 v3, v7, v3
	v_mul_f16_e32 v4, 0.5, v4
	s_delay_alu instid0(VALU_DEP_3) | instskip(NEXT) | instid1(VALU_DEP_3)
	v_mul_f16_e32 v5, 0.5, v5
	v_mul_f16_e32 v3, 0.5, v3
	s_waitcnt vmcnt(0)
	v_lshrrev_b32_e32 v7, 16, v1
	s_delay_alu instid0(VALU_DEP_1) | instskip(NEXT) | instid1(VALU_DEP_3)
	v_mul_f16_e32 v6, v7, v4
	v_fma_f16 v8, v5, v7, v3
	v_fma_f16 v7, v5, v7, -v3
	s_delay_alu instid0(VALU_DEP_3) | instskip(SKIP_1) | instid1(VALU_DEP_4)
	v_fma_f16 v9, 0.5, v2, v6
	v_fma_f16 v6, v2, 0.5, -v6
	v_fma_f16 v2, -v1, v4, v8
	s_delay_alu instid0(VALU_DEP_4) | instskip(NEXT) | instid1(VALU_DEP_4)
	v_fma_f16 v4, -v1, v4, v7
                                        ; implicit-def: $vgpr7
	v_fmac_f16_e32 v9, v1, v5
	s_delay_alu instid0(VALU_DEP_4)
	v_fma_f16 v3, -v1, v5, v6
                                        ; implicit-def: $vgpr6
	ds_store_b16 v46, v9
.LBB0_15:
	s_or_saveexec_b32 s0, s5
	v_mul_i32_i24_e32 v5, 0xffffffdc, v16
	v_mul_i32_i24_e32 v1, 0xffffffdc, v27
	s_xor_b32 exec_lo, exec_lo, s0
	s_cbranch_execz .LBB0_17
; %bb.16:
	v_mov_b32_e32 v2, 0
	v_add_f16_e32 v8, v7, v6
	v_sub_f16_e32 v3, v6, v7
	ds_load_u16 v4, v2 offset:8102
	s_waitcnt lgkmcnt(0)
	v_xor_b32_e32 v6, 0x8000, v4
	v_mov_b32_e32 v4, 0
	ds_store_b16 v46, v8
	ds_store_b16 v2, v6 offset:8102
.LBB0_17:
	s_or_b32 exec_lo, exec_lo, s0
	v_mov_b32_e32 v17, 0
	v_add_nc_u32_e32 v5, v37, v5
	ds_store_b16 v46, v2 offset:2
	ds_load_b32 v13, v0 offset:15660
	v_lshlrev_b64 v[6:7], 2, v[16:17]
	v_add_nc_u32_e32 v16, 0x546, v12
	v_mov_b32_e32 v28, v17
	s_delay_alu instid0(VALU_DEP_3) | instskip(NEXT) | instid1(VALU_DEP_1)
	v_add_co_u32 v6, s0, s1, v6
	v_add_co_ci_u32_e64 v7, s0, s4, v7, s0
	global_load_b32 v8, v[6:7], off
	v_lshlrev_b64 v[6:7], 2, v[27:28]
	v_mov_b32_e32 v27, v17
	s_delay_alu instid0(VALU_DEP_2) | instskip(NEXT) | instid1(VALU_DEP_1)
	v_add_co_u32 v6, s0, s1, v6
	v_add_co_ci_u32_e64 v7, s0, s4, v7, s0
	global_load_b32 v9, v[6:7], off
	v_lshlrev_b64 v[6:7], 2, v[26:27]
	v_mov_b32_e32 v26, v17
	s_delay_alu instid0(VALU_DEP_2) | instskip(NEXT) | instid1(VALU_DEP_1)
	;; [unrolled: 6-line block ×4, first 2 shown]
	v_add_co_u32 v6, s0, s1, v6
	v_add_co_ci_u32_e64 v7, s0, s4, v7, s0
	global_load_b32 v6, v[6:7], off
	v_perm_b32 v7, v4, v3, 0x5040100
	v_lshlrev_b64 v[3:4], 2, v[23:24]
	v_mov_b32_e32 v23, v17
	ds_store_b32 v0, v7 offset:16200
	ds_load_b32 v7, v5
	v_add_co_u32 v2, s0, s1, v3
	s_delay_alu instid0(VALU_DEP_1) | instskip(SKIP_4) | instid1(VALU_DEP_1)
	v_add_co_ci_u32_e64 v3, s0, s4, v4, s0
	global_load_b32 v24, v[2:3], off
	s_waitcnt lgkmcnt(0)
	v_pk_add_f16 v2, v7, v13 neg_lo:[0,1] neg_hi:[0,1]
	v_pk_add_f16 v3, v7, v13
	v_bfi_b32 v4, 0xffff, v2, v3
	v_bfi_b32 v2, 0xffff, v3, v2
	s_delay_alu instid0(VALU_DEP_2) | instskip(NEXT) | instid1(VALU_DEP_2)
	v_pk_mul_f16 v3, v4, 0.5 op_sel_hi:[1,0]
	v_pk_mul_f16 v2, v2, 0.5 op_sel_hi:[1,0]
	s_waitcnt vmcnt(5)
	s_delay_alu instid0(VALU_DEP_1) | instskip(SKIP_3) | instid1(VALU_DEP_3)
	v_pk_fma_f16 v4, v8, v3, v2 op_sel:[1,0,0]
	v_pk_mul_f16 v7, v8, v3 op_sel_hi:[0,1]
	v_pk_fma_f16 v13, v8, v3, v2 op_sel:[1,0,0] neg_lo:[1,0,0] neg_hi:[1,0,0]
	v_pk_fma_f16 v2, v8, v3, v2 op_sel:[1,0,0] neg_lo:[0,0,1] neg_hi:[0,0,1]
	v_pk_add_f16 v3, v4, v7 op_sel:[0,1] op_sel_hi:[1,0]
	v_pk_add_f16 v4, v4, v7 op_sel:[0,1] op_sel_hi:[1,0] neg_lo:[0,1] neg_hi:[0,1]
	s_delay_alu instid0(VALU_DEP_4) | instskip(NEXT) | instid1(VALU_DEP_4)
	v_pk_add_f16 v8, v13, v7 op_sel:[0,1] op_sel_hi:[1,0] neg_lo:[0,1] neg_hi:[0,1]
	v_pk_add_f16 v2, v2, v7 op_sel:[0,1] op_sel_hi:[1,0] neg_lo:[0,1] neg_hi:[0,1]
	v_add_nc_u32_e32 v7, v36, v1
	s_delay_alu instid0(VALU_DEP_4) | instskip(NEXT) | instid1(VALU_DEP_3)
	v_bfi_b32 v3, 0xffff, v3, v4
	v_bfi_b32 v4, 0xffff, v8, v2
	v_lshlrev_b64 v[1:2], 2, v[22:23]
	ds_store_b32 v5, v3
	ds_store_b32 v0, v4 offset:15660
	ds_load_b32 v3, v7
	ds_load_b32 v4, v0 offset:15120
	v_mov_b32_e32 v22, v17
	v_add_co_u32 v1, s0, s1, v1
	s_delay_alu instid0(VALU_DEP_1) | instskip(SKIP_4) | instid1(VALU_DEP_1)
	v_add_co_ci_u32_e64 v2, s0, s4, v2, s0
	global_load_b32 v5, v[1:2], off
	s_waitcnt lgkmcnt(0)
	v_pk_add_f16 v1, v3, v4 neg_lo:[0,1] neg_hi:[0,1]
	v_pk_add_f16 v2, v3, v4
	v_bfi_b32 v3, 0xffff, v1, v2
	v_bfi_b32 v1, 0xffff, v2, v1
	s_delay_alu instid0(VALU_DEP_2) | instskip(NEXT) | instid1(VALU_DEP_2)
	v_pk_mul_f16 v2, v3, 0.5 op_sel_hi:[1,0]
	v_pk_mul_f16 v1, v1, 0.5 op_sel_hi:[1,0]
	s_waitcnt vmcnt(5)
	s_delay_alu instid0(VALU_DEP_2) | instskip(NEXT) | instid1(VALU_DEP_2)
	v_pk_mul_f16 v4, v9, v2 op_sel_hi:[0,1]
	v_pk_fma_f16 v3, v9, v2, v1 op_sel:[1,0,0]
	v_pk_fma_f16 v8, v9, v2, v1 op_sel:[1,0,0] neg_lo:[1,0,0] neg_hi:[1,0,0]
	v_pk_fma_f16 v1, v9, v2, v1 op_sel:[1,0,0] neg_lo:[0,0,1] neg_hi:[0,0,1]
	s_delay_alu instid0(VALU_DEP_3) | instskip(SKIP_1) | instid1(VALU_DEP_4)
	v_pk_add_f16 v2, v3, v4 op_sel:[0,1] op_sel_hi:[1,0]
	v_pk_add_f16 v3, v3, v4 op_sel:[0,1] op_sel_hi:[1,0] neg_lo:[0,1] neg_hi:[0,1]
	v_pk_add_f16 v8, v8, v4 op_sel:[0,1] op_sel_hi:[1,0] neg_lo:[0,1] neg_hi:[0,1]
	s_delay_alu instid0(VALU_DEP_4) | instskip(NEXT) | instid1(VALU_DEP_3)
	v_pk_add_f16 v1, v1, v4 op_sel:[0,1] op_sel_hi:[1,0] neg_lo:[0,1] neg_hi:[0,1]
	v_bfi_b32 v3, 0xffff, v2, v3
	s_delay_alu instid0(VALU_DEP_2)
	v_bfi_b32 v4, 0xffff, v8, v1
	v_lshlrev_b64 v[1:2], 2, v[21:22]
	ds_store_b32 v7, v3
	ds_store_b32 v0, v4 offset:15120
	ds_load_b32 v7, v41
	ds_load_b32 v8, v0 offset:14580
	v_mov_b32_e32 v21, v17
	v_add_co_u32 v1, s0, s1, v1
	s_delay_alu instid0(VALU_DEP_1) | instskip(SKIP_4) | instid1(VALU_DEP_1)
	v_add_co_ci_u32_e64 v2, s0, s4, v2, s0
	v_lshlrev_b64 v[3:4], 2, v[16:17]
	v_add_nc_u32_e32 v16, 0x5cd, v12
	global_load_b32 v9, v[1:2], off
	v_lshlrev_b64 v[1:2], 2, v[20:21]
	v_add_co_u32 v1, s0, s1, v1
	s_delay_alu instid0(VALU_DEP_1) | instskip(SKIP_4) | instid1(VALU_DEP_1)
	v_add_co_ci_u32_e64 v2, s0, s4, v2, s0
	s_waitcnt lgkmcnt(0)
	v_pk_add_f16 v13, v7, v8 neg_lo:[0,1] neg_hi:[0,1]
	v_pk_add_f16 v7, v7, v8
	v_add_co_u32 v3, s0, s1, v3
	v_add_co_ci_u32_e64 v4, s0, s4, v4, s0
	s_delay_alu instid0(VALU_DEP_3)
	v_bfi_b32 v8, 0xffff, v13, v7
	v_bfi_b32 v7, 0xffff, v7, v13
	s_clause 0x1
	global_load_b32 v13, v[1:2], off
	global_load_b32 v3, v[3:4], off
	v_pk_mul_f16 v8, v8, 0.5 op_sel_hi:[1,0]
	v_pk_mul_f16 v7, v7, 0.5 op_sel_hi:[1,0]
	s_waitcnt vmcnt(7)
	s_delay_alu instid0(VALU_DEP_2) | instskip(NEXT) | instid1(VALU_DEP_2)
	v_pk_mul_f16 v2, v10, v8 op_sel_hi:[0,1]
	v_pk_fma_f16 v1, v10, v8, v7 op_sel:[1,0,0]
	v_pk_fma_f16 v4, v10, v8, v7 op_sel:[1,0,0] neg_lo:[1,0,0] neg_hi:[1,0,0]
	v_pk_fma_f16 v7, v10, v8, v7 op_sel:[1,0,0] neg_lo:[0,0,1] neg_hi:[0,0,1]
	s_delay_alu instid0(VALU_DEP_3) | instskip(SKIP_1) | instid1(VALU_DEP_4)
	v_pk_add_f16 v8, v1, v2 op_sel:[0,1] op_sel_hi:[1,0]
	v_pk_add_f16 v1, v1, v2 op_sel:[0,1] op_sel_hi:[1,0] neg_lo:[0,1] neg_hi:[0,1]
	v_pk_add_f16 v4, v4, v2 op_sel:[0,1] op_sel_hi:[1,0] neg_lo:[0,1] neg_hi:[0,1]
	s_delay_alu instid0(VALU_DEP_4) | instskip(NEXT) | instid1(VALU_DEP_3)
	v_pk_add_f16 v2, v7, v2 op_sel:[0,1] op_sel_hi:[1,0] neg_lo:[0,1] neg_hi:[0,1]
	v_bfi_b32 v1, 0xffff, v8, v1
	s_delay_alu instid0(VALU_DEP_2)
	v_bfi_b32 v2, 0xffff, v4, v2
	ds_store_b32 v41, v1
	ds_store_b32 v0, v2 offset:14580
	ds_load_b32 v1, v39
	ds_load_b32 v2, v0 offset:14040
	s_waitcnt lgkmcnt(0)
	v_pk_add_f16 v4, v1, v2 neg_lo:[0,1] neg_hi:[0,1]
	v_pk_add_f16 v1, v1, v2
	s_delay_alu instid0(VALU_DEP_1) | instskip(SKIP_1) | instid1(VALU_DEP_2)
	v_bfi_b32 v2, 0xffff, v4, v1
	v_bfi_b32 v1, 0xffff, v1, v4
	v_pk_mul_f16 v2, v2, 0.5 op_sel_hi:[1,0]
	s_delay_alu instid0(VALU_DEP_2) | instskip(SKIP_1) | instid1(VALU_DEP_2)
	v_pk_mul_f16 v1, v1, 0.5 op_sel_hi:[1,0]
	s_waitcnt vmcnt(6)
	v_pk_mul_f16 v7, v11, v2 op_sel_hi:[0,1]
	s_delay_alu instid0(VALU_DEP_2) | instskip(SKIP_2) | instid1(VALU_DEP_3)
	v_pk_fma_f16 v4, v11, v2, v1 op_sel:[1,0,0]
	v_pk_fma_f16 v8, v11, v2, v1 op_sel:[1,0,0] neg_lo:[1,0,0] neg_hi:[1,0,0]
	v_pk_fma_f16 v1, v11, v2, v1 op_sel:[1,0,0] neg_lo:[0,0,1] neg_hi:[0,0,1]
	v_pk_add_f16 v2, v4, v7 op_sel:[0,1] op_sel_hi:[1,0]
	v_pk_add_f16 v4, v4, v7 op_sel:[0,1] op_sel_hi:[1,0] neg_lo:[0,1] neg_hi:[0,1]
	s_delay_alu instid0(VALU_DEP_4) | instskip(NEXT) | instid1(VALU_DEP_4)
	v_pk_add_f16 v8, v8, v7 op_sel:[0,1] op_sel_hi:[1,0] neg_lo:[0,1] neg_hi:[0,1]
	v_pk_add_f16 v1, v1, v7 op_sel:[0,1] op_sel_hi:[1,0] neg_lo:[0,1] neg_hi:[0,1]
	s_delay_alu instid0(VALU_DEP_3) | instskip(NEXT) | instid1(VALU_DEP_2)
	v_bfi_b32 v2, 0xffff, v2, v4
	v_bfi_b32 v1, 0xffff, v8, v1
	ds_store_b32 v39, v2
	ds_store_b32 v0, v1 offset:14040
	ds_load_b32 v1, v38
	ds_load_b32 v2, v0 offset:13500
	s_waitcnt lgkmcnt(0)
	v_pk_add_f16 v4, v1, v2 neg_lo:[0,1] neg_hi:[0,1]
	v_pk_add_f16 v1, v1, v2
	s_delay_alu instid0(VALU_DEP_1) | instskip(SKIP_1) | instid1(VALU_DEP_2)
	v_bfi_b32 v2, 0xffff, v4, v1
	v_bfi_b32 v1, 0xffff, v1, v4
	v_pk_mul_f16 v2, v2, 0.5 op_sel_hi:[1,0]
	s_delay_alu instid0(VALU_DEP_2) | instskip(SKIP_1) | instid1(VALU_DEP_2)
	v_pk_mul_f16 v1, v1, 0.5 op_sel_hi:[1,0]
	s_waitcnt vmcnt(5)
	v_pk_mul_f16 v7, v6, v2 op_sel_hi:[0,1]
	s_delay_alu instid0(VALU_DEP_2) | instskip(SKIP_2) | instid1(VALU_DEP_3)
	v_pk_fma_f16 v4, v6, v2, v1 op_sel:[1,0,0]
	v_pk_fma_f16 v8, v6, v2, v1 op_sel:[1,0,0] neg_lo:[1,0,0] neg_hi:[1,0,0]
	v_pk_fma_f16 v1, v6, v2, v1 op_sel:[1,0,0] neg_lo:[0,0,1] neg_hi:[0,0,1]
	v_pk_add_f16 v2, v4, v7 op_sel:[0,1] op_sel_hi:[1,0]
	v_pk_add_f16 v4, v4, v7 op_sel:[0,1] op_sel_hi:[1,0] neg_lo:[0,1] neg_hi:[0,1]
	s_delay_alu instid0(VALU_DEP_4) | instskip(NEXT) | instid1(VALU_DEP_4)
	v_pk_add_f16 v6, v8, v7 op_sel:[0,1] op_sel_hi:[1,0] neg_lo:[0,1] neg_hi:[0,1]
	v_pk_add_f16 v1, v1, v7 op_sel:[0,1] op_sel_hi:[1,0] neg_lo:[0,1] neg_hi:[0,1]
	s_delay_alu instid0(VALU_DEP_3) | instskip(NEXT) | instid1(VALU_DEP_2)
	v_bfi_b32 v4, 0xffff, v2, v4
	v_bfi_b32 v6, 0xffff, v6, v1
	v_lshlrev_b64 v[1:2], 2, v[16:17]
	ds_store_b32 v38, v4
	ds_store_b32 v0, v6 offset:13500
	ds_load_b32 v4, v40
	ds_load_b32 v6, v0 offset:12960
	v_add_nc_u32_e32 v16, 0x654, v12
	v_add_co_u32 v1, s0, s1, v1
	s_delay_alu instid0(VALU_DEP_1) | instskip(SKIP_4) | instid1(VALU_DEP_1)
	v_add_co_ci_u32_e64 v2, s0, s4, v2, s0
	global_load_b32 v7, v[1:2], off
	s_waitcnt lgkmcnt(0)
	v_pk_add_f16 v1, v4, v6 neg_lo:[0,1] neg_hi:[0,1]
	v_pk_add_f16 v2, v4, v6
	v_bfi_b32 v4, 0xffff, v1, v2
	v_bfi_b32 v1, 0xffff, v2, v1
	s_delay_alu instid0(VALU_DEP_2) | instskip(NEXT) | instid1(VALU_DEP_2)
	v_pk_mul_f16 v2, v4, 0.5 op_sel_hi:[1,0]
	v_pk_mul_f16 v1, v1, 0.5 op_sel_hi:[1,0]
	s_waitcnt vmcnt(5)
	s_delay_alu instid0(VALU_DEP_2) | instskip(NEXT) | instid1(VALU_DEP_2)
	v_pk_mul_f16 v6, v24, v2 op_sel_hi:[0,1]
	v_pk_fma_f16 v4, v24, v2, v1 op_sel:[1,0,0]
	v_pk_fma_f16 v8, v24, v2, v1 op_sel:[1,0,0] neg_lo:[1,0,0] neg_hi:[1,0,0]
	v_pk_fma_f16 v1, v24, v2, v1 op_sel:[1,0,0] neg_lo:[0,0,1] neg_hi:[0,0,1]
	s_delay_alu instid0(VALU_DEP_3) | instskip(SKIP_1) | instid1(VALU_DEP_4)
	v_pk_add_f16 v2, v4, v6 op_sel:[0,1] op_sel_hi:[1,0]
	v_pk_add_f16 v4, v4, v6 op_sel:[0,1] op_sel_hi:[1,0] neg_lo:[0,1] neg_hi:[0,1]
	v_pk_add_f16 v8, v8, v6 op_sel:[0,1] op_sel_hi:[1,0] neg_lo:[0,1] neg_hi:[0,1]
	s_delay_alu instid0(VALU_DEP_4) | instskip(NEXT) | instid1(VALU_DEP_3)
	v_pk_add_f16 v1, v1, v6 op_sel:[0,1] op_sel_hi:[1,0] neg_lo:[0,1] neg_hi:[0,1]
	v_bfi_b32 v4, 0xffff, v2, v4
	s_delay_alu instid0(VALU_DEP_2)
	v_bfi_b32 v6, 0xffff, v8, v1
	v_lshlrev_b64 v[1:2], 2, v[16:17]
	ds_store_b32 v40, v4
	ds_store_b32 v0, v6 offset:12960
	ds_load_b32 v4, v57
	ds_load_b32 v6, v0 offset:12420
	v_add_nc_u32_e32 v16, 0x6db, v12
	v_add_co_u32 v1, s0, s1, v1
	s_delay_alu instid0(VALU_DEP_1) | instskip(SKIP_4) | instid1(VALU_DEP_1)
	v_add_co_ci_u32_e64 v2, s0, s4, v2, s0
	global_load_b32 v8, v[1:2], off
	s_waitcnt lgkmcnt(0)
	v_pk_add_f16 v1, v4, v6 neg_lo:[0,1] neg_hi:[0,1]
	v_pk_add_f16 v2, v4, v6
	v_bfi_b32 v4, 0xffff, v1, v2
	v_bfi_b32 v1, 0xffff, v2, v1
	s_delay_alu instid0(VALU_DEP_2) | instskip(NEXT) | instid1(VALU_DEP_2)
	v_pk_mul_f16 v2, v4, 0.5 op_sel_hi:[1,0]
	v_pk_mul_f16 v1, v1, 0.5 op_sel_hi:[1,0]
	s_waitcnt vmcnt(5)
	s_delay_alu instid0(VALU_DEP_1) | instskip(SKIP_3) | instid1(VALU_DEP_3)
	v_pk_fma_f16 v4, v5, v2, v1 op_sel:[1,0,0]
	v_pk_mul_f16 v6, v5, v2 op_sel_hi:[0,1]
	v_pk_fma_f16 v10, v5, v2, v1 op_sel:[1,0,0] neg_lo:[1,0,0] neg_hi:[1,0,0]
	v_pk_fma_f16 v1, v5, v2, v1 op_sel:[1,0,0] neg_lo:[0,0,1] neg_hi:[0,0,1]
	v_pk_add_f16 v2, v4, v6 op_sel:[0,1] op_sel_hi:[1,0]
	v_pk_add_f16 v4, v4, v6 op_sel:[0,1] op_sel_hi:[1,0] neg_lo:[0,1] neg_hi:[0,1]
	s_delay_alu instid0(VALU_DEP_4) | instskip(NEXT) | instid1(VALU_DEP_4)
	v_pk_add_f16 v5, v10, v6 op_sel:[0,1] op_sel_hi:[1,0] neg_lo:[0,1] neg_hi:[0,1]
	v_pk_add_f16 v1, v1, v6 op_sel:[0,1] op_sel_hi:[1,0] neg_lo:[0,1] neg_hi:[0,1]
	s_delay_alu instid0(VALU_DEP_3) | instskip(NEXT) | instid1(VALU_DEP_2)
	v_bfi_b32 v4, 0xffff, v2, v4
	v_bfi_b32 v5, 0xffff, v5, v1
	v_lshlrev_b64 v[1:2], 2, v[16:17]
	v_add_nc_u32_e32 v16, 0x762, v12
	ds_store_b32 v57, v4
	ds_store_b32 v0, v5 offset:12420
	ds_load_b32 v4, v56
	ds_load_b32 v5, v0 offset:11880
	v_add_co_u32 v1, s0, s1, v1
	s_delay_alu instid0(VALU_DEP_1) | instskip(SKIP_4) | instid1(VALU_DEP_1)
	v_add_co_ci_u32_e64 v2, s0, s4, v2, s0
	global_load_b32 v6, v[1:2], off
	s_waitcnt lgkmcnt(0)
	v_pk_add_f16 v1, v4, v5 neg_lo:[0,1] neg_hi:[0,1]
	v_pk_add_f16 v2, v4, v5
	v_bfi_b32 v4, 0xffff, v1, v2
	v_bfi_b32 v1, 0xffff, v2, v1
	s_delay_alu instid0(VALU_DEP_2) | instskip(NEXT) | instid1(VALU_DEP_2)
	v_pk_mul_f16 v2, v4, 0.5 op_sel_hi:[1,0]
	v_pk_mul_f16 v1, v1, 0.5 op_sel_hi:[1,0]
	s_waitcnt vmcnt(5)
	s_delay_alu instid0(VALU_DEP_2) | instskip(NEXT) | instid1(VALU_DEP_2)
	v_pk_mul_f16 v5, v9, v2 op_sel_hi:[0,1]
	v_pk_fma_f16 v4, v9, v2, v1 op_sel:[1,0,0]
	v_pk_fma_f16 v10, v9, v2, v1 op_sel:[1,0,0] neg_lo:[1,0,0] neg_hi:[1,0,0]
	v_pk_fma_f16 v1, v9, v2, v1 op_sel:[1,0,0] neg_lo:[0,0,1] neg_hi:[0,0,1]
	s_delay_alu instid0(VALU_DEP_3) | instskip(SKIP_1) | instid1(VALU_DEP_4)
	v_pk_add_f16 v2, v4, v5 op_sel:[0,1] op_sel_hi:[1,0]
	v_pk_add_f16 v4, v4, v5 op_sel:[0,1] op_sel_hi:[1,0] neg_lo:[0,1] neg_hi:[0,1]
	v_pk_add_f16 v9, v10, v5 op_sel:[0,1] op_sel_hi:[1,0] neg_lo:[0,1] neg_hi:[0,1]
	s_delay_alu instid0(VALU_DEP_4) | instskip(NEXT) | instid1(VALU_DEP_3)
	v_pk_add_f16 v1, v1, v5 op_sel:[0,1] op_sel_hi:[1,0] neg_lo:[0,1] neg_hi:[0,1]
	v_bfi_b32 v4, 0xffff, v2, v4
	s_delay_alu instid0(VALU_DEP_2)
	v_bfi_b32 v5, 0xffff, v9, v1
	v_lshlrev_b64 v[1:2], 2, v[16:17]
	ds_store_b32 v56, v4
	ds_store_b32 v0, v5 offset:11880
	ds_load_b32 v4, v45
	ds_load_b32 v5, v0 offset:11340
	v_add_co_u32 v1, s0, s1, v1
	s_delay_alu instid0(VALU_DEP_1) | instskip(SKIP_4) | instid1(VALU_DEP_1)
	v_add_co_ci_u32_e64 v2, s0, s4, v2, s0
	global_load_b32 v1, v[1:2], off
	s_waitcnt lgkmcnt(0)
	v_pk_add_f16 v2, v4, v5 neg_lo:[0,1] neg_hi:[0,1]
	v_pk_add_f16 v4, v4, v5
	v_bfi_b32 v5, 0xffff, v2, v4
	v_bfi_b32 v2, 0xffff, v4, v2
	s_delay_alu instid0(VALU_DEP_2) | instskip(NEXT) | instid1(VALU_DEP_2)
	v_pk_mul_f16 v4, v5, 0.5 op_sel_hi:[1,0]
	v_pk_mul_f16 v2, v2, 0.5 op_sel_hi:[1,0]
	s_waitcnt vmcnt(5)
	s_delay_alu instid0(VALU_DEP_2) | instskip(NEXT) | instid1(VALU_DEP_2)
	v_pk_mul_f16 v9, v13, v4 op_sel_hi:[0,1]
	v_pk_fma_f16 v5, v13, v4, v2 op_sel:[1,0,0]
	v_pk_fma_f16 v10, v13, v4, v2 op_sel:[1,0,0] neg_lo:[1,0,0] neg_hi:[1,0,0]
	v_pk_fma_f16 v2, v13, v4, v2 op_sel:[1,0,0] neg_lo:[0,0,1] neg_hi:[0,0,1]
	s_delay_alu instid0(VALU_DEP_3) | instskip(SKIP_1) | instid1(VALU_DEP_4)
	v_pk_add_f16 v4, v5, v9 op_sel:[0,1] op_sel_hi:[1,0]
	v_pk_add_f16 v5, v5, v9 op_sel:[0,1] op_sel_hi:[1,0] neg_lo:[0,1] neg_hi:[0,1]
	v_pk_add_f16 v10, v10, v9 op_sel:[0,1] op_sel_hi:[1,0] neg_lo:[0,1] neg_hi:[0,1]
	s_delay_alu instid0(VALU_DEP_4) | instskip(NEXT) | instid1(VALU_DEP_3)
	v_pk_add_f16 v2, v2, v9 op_sel:[0,1] op_sel_hi:[1,0] neg_lo:[0,1] neg_hi:[0,1]
	v_bfi_b32 v4, 0xffff, v4, v5
	s_delay_alu instid0(VALU_DEP_2)
	v_bfi_b32 v2, 0xffff, v10, v2
	ds_store_b32 v45, v4
	ds_store_b32 v0, v2 offset:11340
	ds_load_b32 v2, v46 offset:5400
	ds_load_b32 v4, v0 offset:10800
	s_waitcnt lgkmcnt(0)
	v_pk_add_f16 v5, v2, v4 neg_lo:[0,1] neg_hi:[0,1]
	v_pk_add_f16 v2, v2, v4
	s_delay_alu instid0(VALU_DEP_1) | instskip(SKIP_1) | instid1(VALU_DEP_2)
	v_bfi_b32 v4, 0xffff, v5, v2
	v_bfi_b32 v2, 0xffff, v2, v5
	v_pk_mul_f16 v4, v4, 0.5 op_sel_hi:[1,0]
	s_delay_alu instid0(VALU_DEP_2) | instskip(SKIP_1) | instid1(VALU_DEP_2)
	v_pk_mul_f16 v2, v2, 0.5 op_sel_hi:[1,0]
	s_waitcnt vmcnt(4)
	v_pk_mul_f16 v9, v3, v4 op_sel_hi:[0,1]
	s_delay_alu instid0(VALU_DEP_2) | instskip(SKIP_2) | instid1(VALU_DEP_3)
	v_pk_fma_f16 v5, v3, v4, v2 op_sel:[1,0,0]
	v_pk_fma_f16 v10, v3, v4, v2 op_sel:[1,0,0] neg_lo:[1,0,0] neg_hi:[1,0,0]
	v_pk_fma_f16 v2, v3, v4, v2 op_sel:[1,0,0] neg_lo:[0,0,1] neg_hi:[0,0,1]
	v_pk_add_f16 v3, v5, v9 op_sel:[0,1] op_sel_hi:[1,0]
	v_pk_add_f16 v4, v5, v9 op_sel:[0,1] op_sel_hi:[1,0] neg_lo:[0,1] neg_hi:[0,1]
	s_delay_alu instid0(VALU_DEP_4) | instskip(NEXT) | instid1(VALU_DEP_4)
	v_pk_add_f16 v5, v10, v9 op_sel:[0,1] op_sel_hi:[1,0] neg_lo:[0,1] neg_hi:[0,1]
	v_pk_add_f16 v2, v2, v9 op_sel:[0,1] op_sel_hi:[1,0] neg_lo:[0,1] neg_hi:[0,1]
	s_delay_alu instid0(VALU_DEP_3) | instskip(NEXT) | instid1(VALU_DEP_2)
	v_bfi_b32 v3, 0xffff, v3, v4
	v_bfi_b32 v2, 0xffff, v5, v2
	ds_store_b32 v46, v3 offset:5400
	ds_store_b32 v0, v2 offset:10800
	ds_load_b32 v2, v46 offset:5940
	ds_load_b32 v3, v0 offset:10260
	s_waitcnt lgkmcnt(0)
	v_pk_add_f16 v4, v2, v3 neg_lo:[0,1] neg_hi:[0,1]
	v_pk_add_f16 v2, v2, v3
	s_delay_alu instid0(VALU_DEP_1) | instskip(SKIP_1) | instid1(VALU_DEP_2)
	v_bfi_b32 v3, 0xffff, v4, v2
	v_bfi_b32 v2, 0xffff, v2, v4
	v_pk_mul_f16 v3, v3, 0.5 op_sel_hi:[1,0]
	s_delay_alu instid0(VALU_DEP_2) | instskip(SKIP_1) | instid1(VALU_DEP_2)
	v_pk_mul_f16 v2, v2, 0.5 op_sel_hi:[1,0]
	s_waitcnt vmcnt(3)
	v_pk_mul_f16 v5, v7, v3 op_sel_hi:[0,1]
	s_delay_alu instid0(VALU_DEP_2) | instskip(SKIP_2) | instid1(VALU_DEP_3)
	v_pk_fma_f16 v4, v7, v3, v2 op_sel:[1,0,0]
	v_pk_fma_f16 v9, v7, v3, v2 op_sel:[1,0,0] neg_lo:[1,0,0] neg_hi:[1,0,0]
	v_pk_fma_f16 v2, v7, v3, v2 op_sel:[1,0,0] neg_lo:[0,0,1] neg_hi:[0,0,1]
	v_pk_add_f16 v3, v4, v5 op_sel:[0,1] op_sel_hi:[1,0]
	v_pk_add_f16 v4, v4, v5 op_sel:[0,1] op_sel_hi:[1,0] neg_lo:[0,1] neg_hi:[0,1]
	s_delay_alu instid0(VALU_DEP_4) | instskip(NEXT) | instid1(VALU_DEP_4)
	v_pk_add_f16 v7, v9, v5 op_sel:[0,1] op_sel_hi:[1,0] neg_lo:[0,1] neg_hi:[0,1]
	v_pk_add_f16 v2, v2, v5 op_sel:[0,1] op_sel_hi:[1,0] neg_lo:[0,1] neg_hi:[0,1]
	s_delay_alu instid0(VALU_DEP_3) | instskip(NEXT) | instid1(VALU_DEP_2)
	v_bfi_b32 v3, 0xffff, v3, v4
	v_bfi_b32 v2, 0xffff, v7, v2
	ds_store_b32 v46, v3 offset:5940
	ds_store_b32 v0, v2 offset:10260
	ds_load_b32 v2, v46 offset:6480
	ds_load_b32 v3, v0 offset:9720
	s_waitcnt lgkmcnt(0)
	v_pk_add_f16 v4, v2, v3 neg_lo:[0,1] neg_hi:[0,1]
	v_pk_add_f16 v2, v2, v3
	s_delay_alu instid0(VALU_DEP_1) | instskip(SKIP_1) | instid1(VALU_DEP_2)
	v_bfi_b32 v3, 0xffff, v4, v2
	v_bfi_b32 v2, 0xffff, v2, v4
	v_pk_mul_f16 v3, v3, 0.5 op_sel_hi:[1,0]
	s_delay_alu instid0(VALU_DEP_2) | instskip(SKIP_1) | instid1(VALU_DEP_2)
	v_pk_mul_f16 v2, v2, 0.5 op_sel_hi:[1,0]
	s_waitcnt vmcnt(2)
	v_pk_mul_f16 v5, v8, v3 op_sel_hi:[0,1]
	s_delay_alu instid0(VALU_DEP_2) | instskip(SKIP_2) | instid1(VALU_DEP_3)
	v_pk_fma_f16 v4, v8, v3, v2 op_sel:[1,0,0]
	v_pk_fma_f16 v7, v8, v3, v2 op_sel:[1,0,0] neg_lo:[1,0,0] neg_hi:[1,0,0]
	v_pk_fma_f16 v2, v8, v3, v2 op_sel:[1,0,0] neg_lo:[0,0,1] neg_hi:[0,0,1]
	v_pk_add_f16 v3, v4, v5 op_sel:[0,1] op_sel_hi:[1,0]
	v_pk_add_f16 v4, v4, v5 op_sel:[0,1] op_sel_hi:[1,0] neg_lo:[0,1] neg_hi:[0,1]
	s_delay_alu instid0(VALU_DEP_4) | instskip(NEXT) | instid1(VALU_DEP_4)
	v_pk_add_f16 v7, v7, v5 op_sel:[0,1] op_sel_hi:[1,0] neg_lo:[0,1] neg_hi:[0,1]
	v_pk_add_f16 v2, v2, v5 op_sel:[0,1] op_sel_hi:[1,0] neg_lo:[0,1] neg_hi:[0,1]
	s_delay_alu instid0(VALU_DEP_3) | instskip(NEXT) | instid1(VALU_DEP_2)
	v_bfi_b32 v3, 0xffff, v3, v4
	v_bfi_b32 v2, 0xffff, v7, v2
	ds_store_b32 v46, v3 offset:6480
	ds_store_b32 v0, v2 offset:9720
	ds_load_b32 v2, v46 offset:7020
	ds_load_b32 v3, v0 offset:9180
	s_waitcnt lgkmcnt(0)
	v_pk_add_f16 v4, v2, v3 neg_lo:[0,1] neg_hi:[0,1]
	v_pk_add_f16 v2, v2, v3
	s_delay_alu instid0(VALU_DEP_1) | instskip(SKIP_1) | instid1(VALU_DEP_2)
	v_bfi_b32 v3, 0xffff, v4, v2
	v_bfi_b32 v2, 0xffff, v2, v4
	v_pk_mul_f16 v3, v3, 0.5 op_sel_hi:[1,0]
	s_delay_alu instid0(VALU_DEP_2) | instskip(SKIP_1) | instid1(VALU_DEP_1)
	v_pk_mul_f16 v2, v2, 0.5 op_sel_hi:[1,0]
	s_waitcnt vmcnt(1)
	v_pk_fma_f16 v4, v6, v3, v2 op_sel:[1,0,0]
	v_pk_mul_f16 v5, v6, v3 op_sel_hi:[0,1]
	v_pk_fma_f16 v7, v6, v3, v2 op_sel:[1,0,0] neg_lo:[1,0,0] neg_hi:[1,0,0]
	v_pk_fma_f16 v2, v6, v3, v2 op_sel:[1,0,0] neg_lo:[0,0,1] neg_hi:[0,0,1]
	s_delay_alu instid0(VALU_DEP_3) | instskip(SKIP_1) | instid1(VALU_DEP_4)
	v_pk_add_f16 v3, v4, v5 op_sel:[0,1] op_sel_hi:[1,0]
	v_pk_add_f16 v4, v4, v5 op_sel:[0,1] op_sel_hi:[1,0] neg_lo:[0,1] neg_hi:[0,1]
	v_pk_add_f16 v6, v7, v5 op_sel:[0,1] op_sel_hi:[1,0] neg_lo:[0,1] neg_hi:[0,1]
	s_delay_alu instid0(VALU_DEP_4) | instskip(NEXT) | instid1(VALU_DEP_3)
	v_pk_add_f16 v2, v2, v5 op_sel:[0,1] op_sel_hi:[1,0] neg_lo:[0,1] neg_hi:[0,1]
	v_bfi_b32 v3, 0xffff, v3, v4
	s_delay_alu instid0(VALU_DEP_2)
	v_bfi_b32 v2, 0xffff, v6, v2
	ds_store_b32 v46, v3 offset:7020
	ds_store_b32 v0, v2 offset:9180
	ds_load_b32 v2, v46 offset:7560
	ds_load_b32 v3, v0 offset:8640
	s_waitcnt lgkmcnt(0)
	v_pk_add_f16 v4, v2, v3 neg_lo:[0,1] neg_hi:[0,1]
	v_pk_add_f16 v2, v2, v3
	s_delay_alu instid0(VALU_DEP_1) | instskip(SKIP_1) | instid1(VALU_DEP_2)
	v_bfi_b32 v3, 0xffff, v4, v2
	v_bfi_b32 v2, 0xffff, v2, v4
	v_pk_mul_f16 v3, v3, 0.5 op_sel_hi:[1,0]
	s_delay_alu instid0(VALU_DEP_2) | instskip(SKIP_1) | instid1(VALU_DEP_2)
	v_pk_mul_f16 v2, v2, 0.5 op_sel_hi:[1,0]
	s_waitcnt vmcnt(0)
	v_pk_mul_f16 v5, v1, v3 op_sel_hi:[0,1]
	s_delay_alu instid0(VALU_DEP_2) | instskip(SKIP_2) | instid1(VALU_DEP_3)
	v_pk_fma_f16 v4, v1, v3, v2 op_sel:[1,0,0]
	v_pk_fma_f16 v6, v1, v3, v2 op_sel:[1,0,0] neg_lo:[1,0,0] neg_hi:[1,0,0]
	v_pk_fma_f16 v1, v1, v3, v2 op_sel:[1,0,0] neg_lo:[0,0,1] neg_hi:[0,0,1]
	v_pk_add_f16 v2, v4, v5 op_sel:[0,1] op_sel_hi:[1,0]
	v_pk_add_f16 v3, v4, v5 op_sel:[0,1] op_sel_hi:[1,0] neg_lo:[0,1] neg_hi:[0,1]
	s_delay_alu instid0(VALU_DEP_4) | instskip(NEXT) | instid1(VALU_DEP_4)
	v_pk_add_f16 v4, v6, v5 op_sel:[0,1] op_sel_hi:[1,0] neg_lo:[0,1] neg_hi:[0,1]
	v_pk_add_f16 v1, v1, v5 op_sel:[0,1] op_sel_hi:[1,0] neg_lo:[0,1] neg_hi:[0,1]
	s_delay_alu instid0(VALU_DEP_3) | instskip(NEXT) | instid1(VALU_DEP_2)
	v_bfi_b32 v2, 0xffff, v2, v3
	v_bfi_b32 v1, 0xffff, v4, v1
	ds_store_b32 v46, v2 offset:7560
	ds_store_b32 v0, v1 offset:8640
	s_waitcnt lgkmcnt(0)
	s_barrier
	buffer_gl0_inv
	s_and_saveexec_b32 s0, vcc_lo
	s_cbranch_execz .LBB0_20
; %bb.18:
	v_mul_lo_u32 v2, s3, v18
	v_mul_lo_u32 v3, s2, v19
	v_mad_u64_u32 v[0:1], null, s2, v18, 0
	v_dual_mov_b32 v13, v17 :: v_dual_add_nc_u32 v16, 0x87, v12
	v_lshl_add_u32 v32, v12, 2, 0
	s_delay_alu instid0(VALU_DEP_2) | instskip(NEXT) | instid1(VALU_DEP_4)
	v_lshlrev_b64 v[6:7], 2, v[12:13]
	v_add3_u32 v1, v1, v3, v2
	v_lshlrev_b64 v[2:3], 2, v[14:15]
	v_lshlrev_b64 v[8:9], 2, v[16:17]
	v_add_nc_u32_e32 v16, 0x10e, v12
	v_add_nc_u32_e32 v13, 0x400, v32
	v_lshlrev_b64 v[0:1], 2, v[0:1]
	v_add_nc_u32_e32 v15, 0x800, v32
	ds_load_2addr_b32 v[4:5], v32 offset1:135
	v_lshlrev_b64 v[10:11], 2, v[16:17]
	v_add_nc_u32_e32 v16, 0x195, v12
	v_add_co_u32 v0, vcc_lo, s6, v0
	v_add_co_ci_u32_e32 v1, vcc_lo, s7, v1, vcc_lo
	ds_load_2addr_b32 v[20:21], v15 offset0:28 offset1:163
	v_add_co_u32 v0, vcc_lo, v0, v2
	v_add_co_ci_u32_e32 v1, vcc_lo, v1, v3, vcc_lo
	v_add_nc_u32_e32 v15, 0xc00, v32
	s_delay_alu instid0(VALU_DEP_3) | instskip(NEXT) | instid1(VALU_DEP_3)
	v_add_co_u32 v2, vcc_lo, v0, v6
	v_add_co_ci_u32_e32 v3, vcc_lo, v1, v7, vcc_lo
	v_add_co_u32 v6, vcc_lo, v0, v8
	v_add_co_ci_u32_e32 v7, vcc_lo, v1, v9, vcc_lo
	ds_load_2addr_b32 v[8:9], v13 offset0:14 offset1:149
	v_lshlrev_b64 v[13:14], 2, v[16:17]
	v_add_nc_u32_e32 v16, 0x21c, v12
	v_add_co_u32 v10, vcc_lo, v0, v10
	v_add_co_ci_u32_e32 v11, vcc_lo, v1, v11, vcc_lo
	s_delay_alu instid0(VALU_DEP_3)
	v_lshlrev_b64 v[18:19], 2, v[16:17]
	v_add_nc_u32_e32 v16, 0x2a3, v12
	v_add_co_u32 v13, vcc_lo, v0, v13
	ds_load_2addr_b32 v[26:27], v15 offset0:42 offset1:177
	v_add_co_ci_u32_e32 v14, vcc_lo, v1, v14, vcc_lo
	v_lshlrev_b64 v[22:23], 2, v[16:17]
	v_add_nc_u32_e32 v16, 0x32a, v12
	v_add_co_u32 v18, vcc_lo, v0, v18
	v_add_co_ci_u32_e32 v19, vcc_lo, v1, v19, vcc_lo
	s_delay_alu instid0(VALU_DEP_3) | instskip(SKIP_3) | instid1(VALU_DEP_3)
	v_lshlrev_b64 v[24:25], 2, v[16:17]
	v_add_nc_u32_e32 v16, 0x3b1, v12
	v_add_co_u32 v22, vcc_lo, v0, v22
	v_add_co_ci_u32_e32 v23, vcc_lo, v1, v23, vcc_lo
	v_lshlrev_b64 v[28:29], 2, v[16:17]
	v_add_nc_u32_e32 v16, 0x438, v12
	v_add_co_u32 v24, vcc_lo, v0, v24
	v_add_co_ci_u32_e32 v25, vcc_lo, v1, v25, vcc_lo
	s_delay_alu instid0(VALU_DEP_3)
	v_lshlrev_b64 v[30:31], 2, v[16:17]
	v_add_nc_u32_e32 v16, 0x4bf, v12
	v_add_co_u32 v28, vcc_lo, v0, v28
	v_add_co_ci_u32_e32 v29, vcc_lo, v1, v29, vcc_lo
	s_waitcnt lgkmcnt(3)
	s_clause 0x1
	global_store_b32 v[2:3], v4, off
	global_store_b32 v[6:7], v5, off
	s_waitcnt lgkmcnt(1)
	s_clause 0x3
	global_store_b32 v[10:11], v8, off
	global_store_b32 v[13:14], v9, off
	;; [unrolled: 1-line block ×4, first 2 shown]
	s_waitcnt lgkmcnt(0)
	s_clause 0x1
	global_store_b32 v[24:25], v26, off
	global_store_b32 v[28:29], v27, off
	v_lshlrev_b64 v[4:5], 2, v[16:17]
	v_add_nc_u32_e32 v16, 0x546, v12
	v_add_nc_u32_e32 v15, 0x1000, v32
	v_add_co_u32 v6, vcc_lo, v0, v30
	v_add_nc_u32_e32 v10, 0x1400, v32
	s_delay_alu instid0(VALU_DEP_4)
	v_lshlrev_b64 v[8:9], 2, v[16:17]
	v_add_nc_u32_e32 v16, 0x5cd, v12
	ds_load_2addr_b32 v[2:3], v15 offset0:56 offset1:191
	v_add_nc_u32_e32 v15, 0x1800, v32
	v_add_co_ci_u32_e32 v7, vcc_lo, v1, v31, vcc_lo
	v_lshlrev_b64 v[13:14], 2, v[16:17]
	v_add_nc_u32_e32 v16, 0x654, v12
	v_add_co_u32 v4, vcc_lo, v0, v4
	ds_load_2addr_b32 v[20:21], v15 offset0:84 offset1:219
	v_add_nc_u32_e32 v15, 0x1c00, v32
	v_lshlrev_b64 v[18:19], 2, v[16:17]
	v_add_nc_u32_e32 v16, 0x6db, v12
	v_add_co_ci_u32_e32 v5, vcc_lo, v1, v5, vcc_lo
	ds_load_2addr_b32 v[10:11], v10 offset0:70 offset1:205
	v_add_co_u32 v8, vcc_lo, v0, v8
	v_lshlrev_b64 v[22:23], 2, v[16:17]
	v_add_nc_u32_e32 v16, 0x762, v12
	v_add_co_ci_u32_e32 v9, vcc_lo, v1, v9, vcc_lo
	v_add_co_u32 v13, vcc_lo, v0, v13
	s_delay_alu instid0(VALU_DEP_3)
	v_lshlrev_b64 v[24:25], 2, v[16:17]
	v_add_nc_u32_e32 v16, 0x7e9, v12
	ds_load_2addr_b32 v[26:27], v15 offset0:98 offset1:233
	v_add_co_ci_u32_e32 v14, vcc_lo, v1, v14, vcc_lo
	v_add_co_u32 v18, vcc_lo, v0, v18
	v_lshlrev_b64 v[28:29], 2, v[16:17]
	v_add_nc_u32_e32 v16, 0x870, v12
	v_add_co_ci_u32_e32 v19, vcc_lo, v1, v19, vcc_lo
	v_add_co_u32 v22, vcc_lo, v0, v22
	v_add_co_ci_u32_e32 v23, vcc_lo, v1, v23, vcc_lo
	v_add_co_u32 v24, vcc_lo, v0, v24
	v_lshlrev_b64 v[30:31], 2, v[16:17]
	v_add_nc_u32_e32 v16, 0x8f7, v12
	v_add_co_ci_u32_e32 v25, vcc_lo, v1, v25, vcc_lo
	v_add_co_u32 v28, vcc_lo, v0, v28
	v_add_co_ci_u32_e32 v29, vcc_lo, v1, v29, vcc_lo
	s_waitcnt lgkmcnt(3)
	s_clause 0x1
	global_store_b32 v[6:7], v2, off
	global_store_b32 v[4:5], v3, off
	s_waitcnt lgkmcnt(1)
	s_clause 0x3
	global_store_b32 v[8:9], v10, off
	global_store_b32 v[13:14], v11, off
	;; [unrolled: 1-line block ×4, first 2 shown]
	s_waitcnt lgkmcnt(0)
	s_clause 0x1
	global_store_b32 v[24:25], v26, off
	global_store_b32 v[28:29], v27, off
	v_lshlrev_b64 v[4:5], 2, v[16:17]
	v_add_nc_u32_e32 v16, 0x97e, v12
	v_add_nc_u32_e32 v15, 0x2000, v32
	v_add_co_u32 v6, vcc_lo, v0, v30
	v_add_nc_u32_e32 v10, 0x2500, v32
	s_delay_alu instid0(VALU_DEP_4)
	v_lshlrev_b64 v[8:9], 2, v[16:17]
	v_add_nc_u32_e32 v16, 0xa05, v12
	ds_load_2addr_b32 v[2:3], v15 offset0:112 offset1:247
	v_add_nc_u32_e32 v15, 0x2a00, v32
	v_add_co_ci_u32_e32 v7, vcc_lo, v1, v31, vcc_lo
	v_lshlrev_b64 v[13:14], 2, v[16:17]
	v_add_nc_u32_e32 v16, 0xa8c, v12
	v_add_co_u32 v4, vcc_lo, v0, v4
	ds_load_2addr_b32 v[20:21], v15 offset0:12 offset1:147
	v_add_nc_u32_e32 v15, 0x2e00, v32
	v_lshlrev_b64 v[18:19], 2, v[16:17]
	v_add_nc_u32_e32 v16, 0xb13, v12
	v_add_co_ci_u32_e32 v5, vcc_lo, v1, v5, vcc_lo
	ds_load_2addr_b32 v[10:11], v10 offset0:62 offset1:197
	v_add_co_u32 v8, vcc_lo, v0, v8
	v_lshlrev_b64 v[22:23], 2, v[16:17]
	v_add_nc_u32_e32 v16, 0xb9a, v12
	v_add_co_ci_u32_e32 v9, vcc_lo, v1, v9, vcc_lo
	v_add_co_u32 v13, vcc_lo, v0, v13
	s_delay_alu instid0(VALU_DEP_3)
	v_lshlrev_b64 v[24:25], 2, v[16:17]
	v_add_nc_u32_e32 v16, 0xc21, v12
	ds_load_2addr_b32 v[26:27], v15 offset0:26 offset1:161
	v_add_co_ci_u32_e32 v14, vcc_lo, v1, v14, vcc_lo
	v_add_co_u32 v18, vcc_lo, v0, v18
	v_lshlrev_b64 v[28:29], 2, v[16:17]
	v_add_nc_u32_e32 v16, 0xca8, v12
	v_add_co_ci_u32_e32 v19, vcc_lo, v1, v19, vcc_lo
	v_add_co_u32 v22, vcc_lo, v0, v22
	v_add_co_ci_u32_e32 v23, vcc_lo, v1, v23, vcc_lo
	v_add_co_u32 v24, vcc_lo, v0, v24
	v_lshlrev_b64 v[30:31], 2, v[16:17]
	v_add_nc_u32_e32 v16, 0xd2f, v12
	v_add_co_ci_u32_e32 v25, vcc_lo, v1, v25, vcc_lo
	v_add_co_u32 v28, vcc_lo, v0, v28
	v_add_co_ci_u32_e32 v29, vcc_lo, v1, v29, vcc_lo
	s_waitcnt lgkmcnt(3)
	s_clause 0x1
	global_store_b32 v[6:7], v2, off
	global_store_b32 v[4:5], v3, off
	s_waitcnt lgkmcnt(1)
	s_clause 0x3
	global_store_b32 v[8:9], v10, off
	global_store_b32 v[13:14], v11, off
	;; [unrolled: 1-line block ×4, first 2 shown]
	s_waitcnt lgkmcnt(0)
	s_clause 0x1
	global_store_b32 v[24:25], v26, off
	global_store_b32 v[28:29], v27, off
	v_lshlrev_b64 v[4:5], 2, v[16:17]
	v_add_nc_u32_e32 v16, 0xdb6, v12
	v_add_nc_u32_e32 v15, 0x3200, v32
	v_add_co_u32 v6, vcc_lo, v0, v30
	v_add_nc_u32_e32 v10, 0x3600, v32
	s_delay_alu instid0(VALU_DEP_4)
	v_lshlrev_b64 v[8:9], 2, v[16:17]
	v_add_nc_u32_e32 v16, 0xe3d, v12
	ds_load_2addr_b32 v[2:3], v15 offset0:40 offset1:175
	v_add_co_ci_u32_e32 v7, vcc_lo, v1, v31, vcc_lo
	v_add_nc_u32_e32 v15, 0x3a00, v32
	v_lshlrev_b64 v[13:14], 2, v[16:17]
	v_add_nc_u32_e32 v16, 0xec4, v12
	v_add_co_u32 v4, vcc_lo, v0, v4
	v_add_co_ci_u32_e32 v5, vcc_lo, v1, v5, vcc_lo
	s_delay_alu instid0(VALU_DEP_3)
	v_lshlrev_b64 v[20:21], 2, v[16:17]
	v_add_nc_u32_e32 v16, 0xf4b, v12
	ds_load_2addr_b32 v[10:11], v10 offset0:54 offset1:189
	v_add_co_u32 v8, vcc_lo, v0, v8
	ds_load_2addr_b32 v[18:19], v15 offset0:68 offset1:203
	v_add_co_ci_u32_e32 v9, vcc_lo, v1, v9, vcc_lo
	v_add_co_u32 v13, vcc_lo, v0, v13
	v_lshlrev_b64 v[15:16], 2, v[16:17]
	v_add_co_ci_u32_e32 v14, vcc_lo, v1, v14, vcc_lo
	v_add_co_u32 v20, vcc_lo, v0, v20
	v_add_co_ci_u32_e32 v21, vcc_lo, v1, v21, vcc_lo
	s_delay_alu instid0(VALU_DEP_4)
	v_add_co_u32 v15, vcc_lo, v0, v15
	v_add_co_ci_u32_e32 v16, vcc_lo, v1, v16, vcc_lo
	v_cmp_eq_u32_e32 vcc_lo, 0x86, v12
	s_waitcnt lgkmcnt(2)
	s_clause 0x1
	global_store_b32 v[6:7], v2, off
	global_store_b32 v[4:5], v3, off
	s_waitcnt lgkmcnt(1)
	s_clause 0x1
	global_store_b32 v[8:9], v10, off
	global_store_b32 v[13:14], v11, off
	;; [unrolled: 4-line block ×3, first 2 shown]
	s_and_b32 exec_lo, exec_lo, vcc_lo
	s_cbranch_execz .LBB0_20
; %bb.19:
	v_mov_b32_e32 v2, 0
	v_add_co_u32 v0, vcc_lo, 0x3000, v0
	v_add_co_ci_u32_e32 v1, vcc_lo, 0, v1, vcc_lo
	ds_load_b32 v2, v2 offset:16200
	s_waitcnt lgkmcnt(0)
	global_store_b32 v[0:1], v2, off offset:3912
.LBB0_20:
	s_nop 0
	s_sendmsg sendmsg(MSG_DEALLOC_VGPRS)
	s_endpgm
	.section	.rodata,"a",@progbits
	.p2align	6, 0x0
	.amdhsa_kernel fft_rtc_fwd_len4050_factors_10_5_3_3_3_3_wgs_135_tpt_135_halfLds_half_op_CI_CI_unitstride_sbrr_R2C_dirReg
		.amdhsa_group_segment_fixed_size 0
		.amdhsa_private_segment_fixed_size 0
		.amdhsa_kernarg_size 104
		.amdhsa_user_sgpr_count 15
		.amdhsa_user_sgpr_dispatch_ptr 0
		.amdhsa_user_sgpr_queue_ptr 0
		.amdhsa_user_sgpr_kernarg_segment_ptr 1
		.amdhsa_user_sgpr_dispatch_id 0
		.amdhsa_user_sgpr_private_segment_size 0
		.amdhsa_wavefront_size32 1
		.amdhsa_uses_dynamic_stack 0
		.amdhsa_enable_private_segment 0
		.amdhsa_system_sgpr_workgroup_id_x 1
		.amdhsa_system_sgpr_workgroup_id_y 0
		.amdhsa_system_sgpr_workgroup_id_z 0
		.amdhsa_system_sgpr_workgroup_info 0
		.amdhsa_system_vgpr_workitem_id 0
		.amdhsa_next_free_vgpr 117
		.amdhsa_next_free_sgpr 27
		.amdhsa_reserve_vcc 1
		.amdhsa_float_round_mode_32 0
		.amdhsa_float_round_mode_16_64 0
		.amdhsa_float_denorm_mode_32 3
		.amdhsa_float_denorm_mode_16_64 3
		.amdhsa_dx10_clamp 1
		.amdhsa_ieee_mode 1
		.amdhsa_fp16_overflow 0
		.amdhsa_workgroup_processor_mode 1
		.amdhsa_memory_ordered 1
		.amdhsa_forward_progress 0
		.amdhsa_shared_vgpr_count 0
		.amdhsa_exception_fp_ieee_invalid_op 0
		.amdhsa_exception_fp_denorm_src 0
		.amdhsa_exception_fp_ieee_div_zero 0
		.amdhsa_exception_fp_ieee_overflow 0
		.amdhsa_exception_fp_ieee_underflow 0
		.amdhsa_exception_fp_ieee_inexact 0
		.amdhsa_exception_int_div_zero 0
	.end_amdhsa_kernel
	.text
.Lfunc_end0:
	.size	fft_rtc_fwd_len4050_factors_10_5_3_3_3_3_wgs_135_tpt_135_halfLds_half_op_CI_CI_unitstride_sbrr_R2C_dirReg, .Lfunc_end0-fft_rtc_fwd_len4050_factors_10_5_3_3_3_3_wgs_135_tpt_135_halfLds_half_op_CI_CI_unitstride_sbrr_R2C_dirReg
                                        ; -- End function
	.section	.AMDGPU.csdata,"",@progbits
; Kernel info:
; codeLenInByte = 26172
; NumSgprs: 29
; NumVgprs: 117
; ScratchSize: 0
; MemoryBound: 0
; FloatMode: 240
; IeeeMode: 1
; LDSByteSize: 0 bytes/workgroup (compile time only)
; SGPRBlocks: 3
; VGPRBlocks: 14
; NumSGPRsForWavesPerEU: 29
; NumVGPRsForWavesPerEU: 117
; Occupancy: 12
; WaveLimiterHint : 1
; COMPUTE_PGM_RSRC2:SCRATCH_EN: 0
; COMPUTE_PGM_RSRC2:USER_SGPR: 15
; COMPUTE_PGM_RSRC2:TRAP_HANDLER: 0
; COMPUTE_PGM_RSRC2:TGID_X_EN: 1
; COMPUTE_PGM_RSRC2:TGID_Y_EN: 0
; COMPUTE_PGM_RSRC2:TGID_Z_EN: 0
; COMPUTE_PGM_RSRC2:TIDIG_COMP_CNT: 0
	.text
	.p2alignl 7, 3214868480
	.fill 96, 4, 3214868480
	.type	__hip_cuid_6bae4080d8679a2,@object ; @__hip_cuid_6bae4080d8679a2
	.section	.bss,"aw",@nobits
	.globl	__hip_cuid_6bae4080d8679a2
__hip_cuid_6bae4080d8679a2:
	.byte	0                               ; 0x0
	.size	__hip_cuid_6bae4080d8679a2, 1

	.ident	"AMD clang version 19.0.0git (https://github.com/RadeonOpenCompute/llvm-project roc-6.4.0 25133 c7fe45cf4b819c5991fe208aaa96edf142730f1d)"
	.section	".note.GNU-stack","",@progbits
	.addrsig
	.addrsig_sym __hip_cuid_6bae4080d8679a2
	.amdgpu_metadata
---
amdhsa.kernels:
  - .args:
      - .actual_access:  read_only
        .address_space:  global
        .offset:         0
        .size:           8
        .value_kind:     global_buffer
      - .offset:         8
        .size:           8
        .value_kind:     by_value
      - .actual_access:  read_only
        .address_space:  global
        .offset:         16
        .size:           8
        .value_kind:     global_buffer
      - .actual_access:  read_only
        .address_space:  global
        .offset:         24
        .size:           8
        .value_kind:     global_buffer
      - .actual_access:  read_only
        .address_space:  global
        .offset:         32
        .size:           8
        .value_kind:     global_buffer
      - .offset:         40
        .size:           8
        .value_kind:     by_value
      - .actual_access:  read_only
        .address_space:  global
        .offset:         48
        .size:           8
        .value_kind:     global_buffer
      - .actual_access:  read_only
        .address_space:  global
        .offset:         56
        .size:           8
        .value_kind:     global_buffer
      - .offset:         64
        .size:           4
        .value_kind:     by_value
      - .actual_access:  read_only
        .address_space:  global
        .offset:         72
        .size:           8
        .value_kind:     global_buffer
      - .actual_access:  read_only
        .address_space:  global
        .offset:         80
        .size:           8
        .value_kind:     global_buffer
      - .actual_access:  read_only
        .address_space:  global
        .offset:         88
        .size:           8
        .value_kind:     global_buffer
      - .actual_access:  write_only
        .address_space:  global
        .offset:         96
        .size:           8
        .value_kind:     global_buffer
    .group_segment_fixed_size: 0
    .kernarg_segment_align: 8
    .kernarg_segment_size: 104
    .language:       OpenCL C
    .language_version:
      - 2
      - 0
    .max_flat_workgroup_size: 135
    .name:           fft_rtc_fwd_len4050_factors_10_5_3_3_3_3_wgs_135_tpt_135_halfLds_half_op_CI_CI_unitstride_sbrr_R2C_dirReg
    .private_segment_fixed_size: 0
    .sgpr_count:     29
    .sgpr_spill_count: 0
    .symbol:         fft_rtc_fwd_len4050_factors_10_5_3_3_3_3_wgs_135_tpt_135_halfLds_half_op_CI_CI_unitstride_sbrr_R2C_dirReg.kd
    .uniform_work_group_size: 1
    .uses_dynamic_stack: false
    .vgpr_count:     117
    .vgpr_spill_count: 0
    .wavefront_size: 32
    .workgroup_processor_mode: 1
amdhsa.target:   amdgcn-amd-amdhsa--gfx1100
amdhsa.version:
  - 1
  - 2
...

	.end_amdgpu_metadata
